;; amdgpu-corpus repo=ROCm/rocFFT kind=compiled arch=gfx1030 opt=O3
	.text
	.amdgcn_target "amdgcn-amd-amdhsa--gfx1030"
	.amdhsa_code_object_version 6
	.protected	fft_rtc_fwd_len208_factors_2_2_4_13_wgs_247_tpt_13_dim3_sp_ip_CI_sbcc_twdbase8_3step_dirReg ; -- Begin function fft_rtc_fwd_len208_factors_2_2_4_13_wgs_247_tpt_13_dim3_sp_ip_CI_sbcc_twdbase8_3step_dirReg
	.globl	fft_rtc_fwd_len208_factors_2_2_4_13_wgs_247_tpt_13_dim3_sp_ip_CI_sbcc_twdbase8_3step_dirReg
	.p2align	8
	.type	fft_rtc_fwd_len208_factors_2_2_4_13_wgs_247_tpt_13_dim3_sp_ip_CI_sbcc_twdbase8_3step_dirReg,@function
fft_rtc_fwd_len208_factors_2_2_4_13_wgs_247_tpt_13_dim3_sp_ip_CI_sbcc_twdbase8_3step_dirReg: ; @fft_rtc_fwd_len208_factors_2_2_4_13_wgs_247_tpt_13_dim3_sp_ip_CI_sbcc_twdbase8_3step_dirReg
; %bb.0:
	s_load_dwordx4 s[0:3], s[4:5], 0x10
	s_waitcnt lgkmcnt(0)
	s_load_dwordx2 s[10:11], s[0:1], 0x8
	s_waitcnt lgkmcnt(0)
	s_add_u32 s7, s10, -1
	s_addc_u32 s8, s11, -1
	s_add_u32 s9, 0, 0x50d6f500
	s_addc_u32 s12, 0, 46
	s_mul_hi_u32 s14, s9, 0xffffffed
	s_add_i32 s12, s12, 0xd794330
	s_sub_i32 s14, s14, s9
	s_mul_i32 s16, s12, 0xffffffed
	s_mul_i32 s13, s9, 0xffffffed
	s_add_i32 s14, s14, s16
	s_mul_hi_u32 s15, s9, s13
	s_mul_i32 s18, s9, s14
	s_mul_hi_u32 s16, s9, s14
	s_mul_hi_u32 s17, s12, s13
	s_mul_i32 s13, s12, s13
	s_add_u32 s15, s15, s18
	s_addc_u32 s16, 0, s16
	s_mul_hi_u32 s19, s12, s14
	s_add_u32 s13, s15, s13
	s_mul_i32 s14, s12, s14
	s_addc_u32 s13, s16, s17
	s_addc_u32 s15, s19, 0
	s_add_u32 s13, s13, s14
	v_add_co_u32 v1, s9, s9, s13
	s_addc_u32 s13, 0, s15
	s_cmp_lg_u32 s9, 0
	s_addc_u32 s9, s12, s13
	v_readfirstlane_b32 s12, v1
	s_mul_i32 s14, s7, s9
	s_mul_hi_u32 s13, s7, s9
	s_mul_hi_u32 s15, s8, s9
	s_mul_i32 s9, s8, s9
	s_mul_hi_u32 s16, s7, s12
	s_mul_hi_u32 s17, s8, s12
	s_mul_i32 s12, s8, s12
	s_add_u32 s14, s16, s14
	s_addc_u32 s13, 0, s13
	s_add_u32 s12, s14, s12
	s_addc_u32 s12, s13, s17
	s_addc_u32 s13, s15, 0
	s_add_u32 s9, s12, s9
	s_addc_u32 s12, 0, s13
	s_mul_i32 s14, s9, 19
	s_add_u32 s13, s9, 1
	v_sub_co_u32 v1, s7, s7, s14
	s_mul_hi_u32 s14, s9, 19
	s_addc_u32 s15, s12, 0
	s_mul_i32 s16, s12, 19
	v_sub_co_u32 v2, s17, v1, 19
	s_add_u32 s18, s9, 2
	s_addc_u32 s19, s12, 0
	s_add_i32 s14, s14, s16
	s_cmp_lg_u32 s7, 0
	v_readfirstlane_b32 s7, v2
	s_subb_u32 s8, s8, s14
	s_cmp_lg_u32 s17, 0
	s_subb_u32 s14, s8, 0
	s_cmp_gt_u32 s7, 18
	s_cselect_b32 s7, -1, 0
	s_cmp_eq_u32 s14, 0
	v_readfirstlane_b32 s14, v1
	s_cselect_b32 s7, s7, -1
	s_cmp_lg_u32 s7, 0
	s_cselect_b32 s13, s18, s13
	s_cselect_b32 s15, s19, s15
	s_cmp_gt_u32 s14, 18
	s_mov_b64 s[18:19], 0
	s_cselect_b32 s7, -1, 0
	s_cmp_eq_u32 s8, 0
	s_cselect_b32 s7, s7, -1
	s_cmp_lg_u32 s7, 0
	s_mov_b32 s7, 0
	s_cselect_b32 s8, s13, s9
	s_cselect_b32 s9, s15, s12
	s_add_u32 s16, s8, 1
	s_addc_u32 s17, s9, 0
	v_cmp_lt_u64_e64 s8, s[6:7], s[16:17]
	s_and_b32 vcc_lo, exec_lo, s8
	s_cbranch_vccnz .LBB0_2
; %bb.1:
	v_cvt_f32_u32_e32 v1, s16
	s_sub_i32 s9, 0, s16
	s_mov_b32 s19, s7
	v_rcp_iflag_f32_e32 v1, v1
	v_mul_f32_e32 v1, 0x4f7ffffe, v1
	v_cvt_u32_f32_e32 v1, v1
	v_readfirstlane_b32 s8, v1
	s_mul_i32 s9, s9, s8
	s_mul_hi_u32 s9, s8, s9
	s_add_i32 s8, s8, s9
	s_mul_hi_u32 s8, s6, s8
	s_mul_i32 s9, s8, s16
	s_add_i32 s12, s8, 1
	s_sub_i32 s9, s6, s9
	s_sub_i32 s13, s9, s16
	s_cmp_ge_u32 s9, s16
	s_cselect_b32 s8, s12, s8
	s_cselect_b32 s9, s13, s9
	s_add_i32 s12, s8, 1
	s_cmp_ge_u32 s9, s16
	s_cselect_b32 s18, s12, s8
.LBB0_2:
	s_load_dwordx2 s[22:23], s[0:1], 0x10
	s_load_dwordx2 s[12:13], s[2:3], 0x8
	s_waitcnt lgkmcnt(0)
	v_cmp_lt_u64_e64 s0, s[18:19], s[22:23]
	s_and_b32 vcc_lo, exec_lo, s0
	s_mov_b64 s[0:1], s[18:19]
	s_cbranch_vccnz .LBB0_4
; %bb.3:
	v_cvt_f32_u32_e32 v1, s22
	s_sub_i32 s1, 0, s22
	v_rcp_iflag_f32_e32 v1, v1
	v_mul_f32_e32 v1, 0x4f7ffffe, v1
	v_cvt_u32_f32_e32 v1, v1
	v_readfirstlane_b32 s0, v1
	s_mul_i32 s1, s1, s0
	s_mul_hi_u32 s1, s0, s1
	s_add_i32 s0, s0, s1
	s_mul_hi_u32 s0, s18, s0
	s_mul_i32 s0, s0, s22
	s_sub_i32 s0, s18, s0
	s_sub_i32 s1, s0, s22
	s_cmp_ge_u32 s0, s22
	s_cselect_b32 s0, s1, s0
	s_sub_i32 s1, s0, s22
	s_cmp_ge_u32 s0, s22
	s_cselect_b32 s0, s1, s0
.LBB0_4:
	s_load_dwordx2 s[14:15], s[4:5], 0x50
	s_clause 0x1
	s_load_dwordx2 s[8:9], s[2:3], 0x0
	s_load_dwordx2 s[20:21], s[2:3], 0x10
	s_mul_i32 s1, s22, s17
	s_mul_hi_u32 s19, s22, s16
	s_mul_i32 s24, s22, s16
	s_add_i32 s1, s19, s1
	s_mul_i32 s19, s23, s16
	s_mov_b64 s[22:23], 0
	s_add_i32 s25, s1, s19
	v_cmp_lt_u64_e64 s1, s[6:7], s[24:25]
	s_and_b32 vcc_lo, exec_lo, s1
	s_cbranch_vccnz .LBB0_6
; %bb.5:
	v_cvt_f32_u32_e32 v1, s24
	s_sub_i32 s7, 0, s24
	v_rcp_iflag_f32_e32 v1, v1
	v_mul_f32_e32 v1, 0x4f7ffffe, v1
	v_cvt_u32_f32_e32 v1, v1
	v_readfirstlane_b32 s1, v1
	s_mul_i32 s7, s7, s1
	s_mul_hi_u32 s7, s1, s7
	s_add_i32 s1, s1, s7
	s_mul_hi_u32 s1, s6, s1
	s_mul_i32 s7, s1, s24
	s_add_i32 s19, s1, 1
	s_sub_i32 s7, s6, s7
	s_sub_i32 s22, s7, s24
	s_cmp_ge_u32 s7, s24
	s_cselect_b32 s1, s19, s1
	s_cselect_b32 s7, s22, s7
	s_add_i32 s19, s1, 1
	s_cmp_ge_u32 s7, s24
	s_cselect_b32 s22, s19, s1
.LBB0_6:
	s_load_dwordx2 s[2:3], s[2:3], 0x18
	s_mul_i32 s1, s18, s17
	s_mul_hi_u32 s7, s18, s16
	v_mul_u32_u24_e32 v1, 0xd7a, v0
	s_mul_i32 s16, s18, s16
	s_add_i32 s7, s7, s1
	s_sub_u32 s1, s6, s16
	s_subb_u32 s6, 0, s7
	v_lshrrev_b32_e32 v158, 16, v1
	s_mul_i32 s6, s6, 19
	s_mul_hi_u32 s7, s1, 19
	s_mul_i32 s17, s1, 19
	s_add_i32 s16, s7, s6
	s_mul_hi_u32 s6, s12, s17
	s_mul_i32 s1, s12, s16
	v_mul_lo_u16 v1, v158, 19
	s_add_i32 s1, s6, s1
	s_mul_i32 s18, s13, s17
	s_load_dwordx2 s[6:7], s[4:5], 0x0
	s_add_i32 s1, s1, s18
	s_waitcnt lgkmcnt(0)
	s_mul_i32 s18, s21, s0
	s_mul_hi_u32 s19, s20, s0
	s_mul_i32 s21, s12, s17
	s_mul_i32 s0, s20, s0
	v_sub_nc_u16 v37, v0, v1
	s_add_i32 s19, s19, s18
	s_mul_i32 s3, s3, s22
	s_mul_hi_u32 s18, s2, s22
	s_add_u32 s0, s0, s21
	s_mul_i32 s2, s2, s22
	s_addc_u32 s1, s19, s1
	s_add_i32 s18, s18, s3
	s_add_u32 s2, s2, s0
	s_addc_u32 s3, s18, s1
	v_and_b32_e32 v160, 0xffff, v37
	s_add_u32 s0, s17, 19
	s_addc_u32 s1, s16, 0
	v_add_nc_u32_e32 v38, 13, v158
	v_cmp_gt_u64_e64 s18, s[0:1], s[10:11]
	v_add_co_u32 v24, s17, s17, v160
	v_cmp_le_u64_e64 s1, s[0:1], s[10:11]
	v_add_co_ci_u32_e64 v25, null, s16, 0, s17
	v_add_nc_u32_e32 v39, 26, v158
	v_add_nc_u32_e32 v40, 39, v158
	;; [unrolled: 1-line block ×6, first 2 shown]
	s_and_b32 vcc_lo, exec_lo, s18
	s_mov_b32 s0, 0
	s_cbranch_vccnz .LBB0_8
; %bb.7:
	v_mad_u64_u32 v[1:2], null, s12, v160, 0
	v_mad_u64_u32 v[3:4], null, s8, v158, 0
	v_add_nc_u32_e32 v12, 0x68, v158
	v_add_nc_u32_e32 v159, 13, v158
	;; [unrolled: 1-line block ×3, first 2 shown]
	s_lshl_b64 s[16:17], s[2:3], 3
	v_add_nc_u32_e32 v23, 26, v158
	s_add_u32 s16, s14, s16
	v_mad_u64_u32 v[5:6], null, s13, v160, v[2:3]
	v_mad_u64_u32 v[6:7], null, s8, v12, 0
	;; [unrolled: 1-line block ×4, first 2 shown]
	v_mov_b32_e32 v2, v5
	v_mad_u64_u32 v[4:5], null, s9, v158, v[4:5]
	v_mov_b32_e32 v5, v7
	s_addc_u32 s17, s15, s17
	v_lshlrev_b64 v[1:2], 3, v[1:2]
	v_add_nc_u32_e32 v20, 0x82, v158
	v_add_nc_u32_e32 v36, 39, v158
	v_mad_u64_u32 v[12:13], null, s9, v12, v[5:6]
	v_mov_b32_e32 v5, v9
	v_add_co_u32 v55, vcc_lo, s16, v1
	v_add_co_ci_u32_e32 v56, vcc_lo, s17, v2, vcc_lo
	v_lshlrev_b64 v[1:2], 3, v[3:4]
	v_mov_b32_e32 v7, v12
	v_mad_u64_u32 v[3:4], null, s9, v159, v[5:6]
	v_mov_b32_e32 v4, v11
	v_mad_u64_u32 v[12:13], null, s8, v23, 0
	v_lshlrev_b64 v[5:6], 3, v[6:7]
	v_add_co_u32 v1, vcc_lo, v55, v1
	v_mov_b32_e32 v9, v3
	v_add_co_ci_u32_e32 v2, vcc_lo, v56, v2, vcc_lo
	v_mad_u64_u32 v[14:15], null, s9, v14, v[4:5]
	v_lshlrev_b64 v[7:8], 3, v[8:9]
	v_mov_b32_e32 v3, v13
	v_add_co_u32 v5, vcc_lo, v55, v5
	v_add_co_ci_u32_e32 v6, vcc_lo, v56, v6, vcc_lo
	v_mov_b32_e32 v11, v14
	v_add_co_u32 v14, vcc_lo, v55, v7
	v_mad_u64_u32 v[3:4], null, s9, v23, v[3:4]
	v_add_co_ci_u32_e32 v15, vcc_lo, v56, v8, vcc_lo
	v_lshlrev_b64 v[7:8], 3, v[10:11]
	v_mad_u64_u32 v[9:10], null, s8, v20, 0
	v_mad_u64_u32 v[16:17], null, s8, v36, 0
	v_add_nc_u32_e32 v28, 0x8f, v158
	v_mov_b32_e32 v13, v3
	v_add_co_u32 v18, vcc_lo, v55, v7
	v_mov_b32_e32 v3, v10
	v_mad_u64_u32 v[26:27], null, s8, v28, 0
	v_mov_b32_e32 v4, v17
	v_lshlrev_b64 v[11:12], 3, v[12:13]
	v_add_co_ci_u32_e32 v19, vcc_lo, v56, v8, vcc_lo
	v_add_nc_u32_e32 v45, 52, v158
	v_mad_u64_u32 v[20:21], null, s9, v20, v[3:4]
	v_mad_u64_u32 v[21:22], null, s9, v36, v[4:5]
	v_mov_b32_e32 v13, v27
	s_clause 0x3
	global_load_dwordx2 v[3:4], v[1:2], off
	global_load_dwordx2 v[7:8], v[5:6], off
	;; [unrolled: 1-line block ×4, first 2 shown]
	v_add_co_u32 v11, vcc_lo, v55, v11
	v_mov_b32_e32 v10, v20
	v_mad_u64_u32 v[13:14], null, s9, v28, v[13:14]
	v_mov_b32_e32 v17, v21
	v_add_co_ci_u32_e32 v12, vcc_lo, v56, v12, vcc_lo
	v_lshlrev_b64 v[9:10], 3, v[9:10]
	v_add_nc_u32_e32 v46, 0x41, v158
	v_lshlrev_b64 v[14:15], 3, v[16:17]
	v_mad_u64_u32 v[17:18], null, s8, v45, 0
	v_add_nc_u32_e32 v16, 0x9c, v158
	v_add_co_u32 v9, vcc_lo, v55, v9
	v_mov_b32_e32 v27, v13
	v_add_co_ci_u32_e32 v10, vcc_lo, v56, v10, vcc_lo
	v_add_co_u32 v19, vcc_lo, v55, v14
	v_mad_u64_u32 v[21:22], null, s8, v16, 0
	v_add_co_ci_u32_e32 v20, vcc_lo, v56, v15, vcc_lo
	v_lshlrev_b64 v[14:15], 3, v[26:27]
	v_mov_b32_e32 v13, v18
	v_mad_u64_u32 v[29:30], null, s8, v46, 0
	v_add_nc_u32_e32 v47, 0x4e, v158
	v_add_nc_u32_e32 v35, 0xb6, v158
	v_mad_u64_u32 v[26:27], null, s9, v45, v[13:14]
	v_mov_b32_e32 v13, v22
	v_add_co_u32 v27, vcc_lo, v55, v14
	v_add_co_ci_u32_e32 v28, vcc_lo, v56, v15, vcc_lo
	v_mad_u64_u32 v[31:32], null, s9, v16, v[13:14]
	s_clause 0x3
	global_load_dwordx2 v[13:14], v[11:12], off
	global_load_dwordx2 v[15:16], v[9:10], off
	global_load_dwordx2 v[11:12], v[19:20], off
	global_load_dwordx2 v[9:10], v[27:28], off
	v_mov_b32_e32 v19, v30
	v_add_nc_u32_e32 v28, 0xa9, v158
	v_mov_b32_e32 v18, v26
	v_mad_u64_u32 v[33:34], null, s8, v35, 0
	v_mad_u64_u32 v[19:20], null, s9, v46, v[19:20]
	v_mad_u64_u32 v[26:27], null, s8, v28, 0
	v_mov_b32_e32 v22, v31
	v_lshlrev_b64 v[17:18], 3, v[17:18]
	v_mad_u64_u32 v[31:32], null, s8, v47, 0
	v_mov_b32_e32 v30, v19
	v_lshlrev_b64 v[20:21], 3, v[21:22]
	v_mov_b32_e32 v19, v27
	v_add_co_u32 v17, vcc_lo, v55, v17
	v_add_co_ci_u32_e32 v18, vcc_lo, v56, v18, vcc_lo
	v_mad_u64_u32 v[27:28], null, s9, v28, v[19:20]
	v_add_co_u32 v19, vcc_lo, v55, v20
	v_add_nc_u32_e32 v48, 0x5b, v158
	v_add_co_ci_u32_e32 v20, vcc_lo, v56, v21, vcc_lo
	v_mov_b32_e32 v21, v32
	v_lshlrev_b64 v[28:29], 3, v[29:30]
	v_mad_u64_u32 v[49:50], null, s8, v48, 0
	v_add_nc_u32_e32 v30, 0xc3, v158
	v_mad_u64_u32 v[21:22], null, s9, v47, v[21:22]
	v_mov_b32_e32 v22, v34
	v_lshlrev_b64 v[26:27], 3, v[26:27]
	v_mad_u64_u32 v[51:52], null, s8, v30, 0
	v_add_co_u32 v28, vcc_lo, v55, v28
	v_mad_u64_u32 v[34:35], null, s9, v35, v[22:23]
	v_mov_b32_e32 v22, v50
	v_mov_b32_e32 v32, v21
	v_add_co_ci_u32_e32 v29, vcc_lo, v56, v29, vcc_lo
	v_add_co_u32 v53, vcc_lo, v55, v26
	v_mad_u64_u32 v[21:22], null, s9, v48, v[22:23]
	v_mov_b32_e32 v22, v52
	v_add_co_ci_u32_e32 v54, vcc_lo, v56, v27, vcc_lo
	v_lshlrev_b64 v[26:27], 3, v[31:32]
	v_mad_u64_u32 v[30:31], null, s9, v30, v[22:23]
	v_lshlrev_b64 v[31:32], 3, v[33:34]
	v_mov_b32_e32 v50, v21
	v_add_co_u32 v21, vcc_lo, v55, v26
	v_add_co_ci_u32_e32 v22, vcc_lo, v56, v27, vcc_lo
	v_mov_b32_e32 v52, v30
	v_lshlrev_b64 v[26:27], 3, v[49:50]
	v_add_co_u32 v30, vcc_lo, v55, v31
	v_add_co_ci_u32_e32 v31, vcc_lo, v56, v32, vcc_lo
	v_lshlrev_b64 v[32:33], 3, v[51:52]
	v_add_co_u32 v49, vcc_lo, v55, v26
	v_add_co_ci_u32_e32 v50, vcc_lo, v56, v27, vcc_lo
	v_add_co_u32 v51, vcc_lo, v55, v32
	v_add_co_ci_u32_e32 v52, vcc_lo, v56, v33, vcc_lo
	s_clause 0x7
	global_load_dwordx2 v[32:33], v[17:18], off
	global_load_dwordx2 v[34:35], v[19:20], off
	;; [unrolled: 1-line block ×8, first 2 shown]
	s_andn2_b32 vcc_lo, exec_lo, s0
	s_cbranch_vccz .LBB0_9
	s_branch .LBB0_14
.LBB0_8:
                                        ; implicit-def: $vgpr9
                                        ; implicit-def: $vgpr28
                                        ; implicit-def: $vgpr19
                                        ; implicit-def: $vgpr17
                                        ; implicit-def: $vgpr30
                                        ; implicit-def: $vgpr21
                                        ; implicit-def: $vgpr26
                                        ; implicit-def: $vgpr34
                                        ; implicit-def: $vgpr32
                                        ; implicit-def: $vgpr11
                                        ; implicit-def: $vgpr15
                                        ; implicit-def: $vgpr13
                                        ; implicit-def: $vgpr5
                                        ; implicit-def: $vgpr1
                                        ; implicit-def: $vgpr7
                                        ; implicit-def: $vgpr3
                                        ; implicit-def: $vgpr159
                                        ; implicit-def: $vgpr23
                                        ; implicit-def: $vgpr36
                                        ; implicit-def: $vgpr45
                                        ; implicit-def: $vgpr46
                                        ; implicit-def: $vgpr47
                                        ; implicit-def: $vgpr48
.LBB0_9:
	s_mov_b32 s0, exec_lo
                                        ; implicit-def: $vgpr159
                                        ; implicit-def: $vgpr23
                                        ; implicit-def: $vgpr36
                                        ; implicit-def: $vgpr45
                                        ; implicit-def: $vgpr46
                                        ; implicit-def: $vgpr47
                                        ; implicit-def: $vgpr48
	v_cmpx_le_u64_e64 s[10:11], v[24:25]
	s_xor_b32 s0, exec_lo, s0
; %bb.10:
	v_add_nc_u32_e32 v159, 13, v158
	v_add_nc_u32_e32 v23, 26, v158
	;; [unrolled: 1-line block ×7, first 2 shown]
                                        ; implicit-def: $vgpr38
                                        ; implicit-def: $vgpr39
                                        ; implicit-def: $vgpr40
                                        ; implicit-def: $vgpr41
                                        ; implicit-def: $vgpr42
                                        ; implicit-def: $vgpr43
                                        ; implicit-def: $vgpr44
; %bb.11:
	s_or_saveexec_b32 s0, s0
                                        ; implicit-def: $vgpr9
                                        ; implicit-def: $vgpr28
                                        ; implicit-def: $vgpr19
                                        ; implicit-def: $vgpr17
                                        ; implicit-def: $vgpr30
                                        ; implicit-def: $vgpr21
                                        ; implicit-def: $vgpr26
                                        ; implicit-def: $vgpr34
                                        ; implicit-def: $vgpr32
                                        ; implicit-def: $vgpr11
                                        ; implicit-def: $vgpr15
                                        ; implicit-def: $vgpr13
                                        ; implicit-def: $vgpr5
                                        ; implicit-def: $vgpr1
                                        ; implicit-def: $vgpr7
                                        ; implicit-def: $vgpr3
	s_xor_b32 exec_lo, exec_lo, s0
	s_cbranch_execz .LBB0_13
; %bb.12:
	s_waitcnt vmcnt(13)
	v_mad_u64_u32 v[1:2], null, s12, v160, 0
	v_mad_u64_u32 v[3:4], null, s8, v158, 0
	s_waitcnt vmcnt(11)
	v_add_nc_u32_e32 v13, 0x68, v158
	v_mad_u64_u32 v[5:6], null, s8, v38, 0
	v_add_nc_u32_e32 v14, 0x75, v158
	s_lshl_b64 s[16:17], s[2:3], 3
	s_waitcnt vmcnt(1)
	v_add_nc_u32_e32 v18, 0x82, v158
	v_mad_u64_u32 v[7:8], null, s13, v160, v[2:3]
	v_mad_u64_u32 v[8:9], null, s8, v13, 0
	;; [unrolled: 1-line block ×3, first 2 shown]
	v_mov_b32_e32 v4, v6
	s_add_u32 s16, s14, s16
	v_mov_b32_e32 v2, v7
	s_addc_u32 s17, s15, s17
	v_mov_b32_e32 v6, v9
	v_mad_u64_u32 v[11:12], null, s9, v38, v[4:5]
	v_mov_b32_e32 v4, v10
	v_lshlrev_b64 v[1:2], 3, v[1:2]
	v_mad_u64_u32 v[6:7], null, s9, v13, v[6:7]
	v_mad_u64_u32 v[12:13], null, s8, v14, 0
	v_lshlrev_b64 v[3:4], 3, v[3:4]
	v_add_co_u32 v54, vcc_lo, s16, v1
	v_add_co_ci_u32_e32 v55, vcc_lo, s17, v2, vcc_lo
	v_mov_b32_e32 v9, v6
	v_mov_b32_e32 v6, v11
	v_add_co_u32 v1, vcc_lo, v54, v3
	v_add_co_ci_u32_e32 v2, vcc_lo, v55, v4, vcc_lo
	v_lshlrev_b64 v[4:5], 3, v[5:6]
	v_mov_b32_e32 v3, v13
	v_lshlrev_b64 v[7:8], 3, v[8:9]
	v_add_nc_u32_e32 v22, 0x8f, v158
	v_add_nc_u32_e32 v30, 0x9c, v158
	;; [unrolled: 1-line block ×3, first 2 shown]
	v_mad_u64_u32 v[9:10], null, s9, v14, v[3:4]
	v_mad_u64_u32 v[10:11], null, s8, v39, 0
	;; [unrolled: 1-line block ×3, first 2 shown]
	v_add_co_u32 v6, vcc_lo, v54, v7
	v_add_co_ci_u32_e32 v7, vcc_lo, v55, v8, vcc_lo
	v_mov_b32_e32 v13, v9
	v_mov_b32_e32 v3, v11
	v_add_co_u32 v16, vcc_lo, v54, v4
	v_mov_b32_e32 v4, v15
	v_lshlrev_b64 v[8:9], 3, v[12:13]
	v_add_co_ci_u32_e32 v17, vcc_lo, v55, v5, vcc_lo
	s_waitcnt vmcnt(0)
	v_mad_u64_u32 v[20:21], null, s8, v22, 0
	v_mad_u64_u32 v[11:12], null, s9, v39, v[3:4]
	v_mad_u64_u32 v[3:4], null, s9, v18, v[4:5]
	v_mad_u64_u32 v[18:19], null, s8, v40, 0
	v_add_co_u32 v12, vcc_lo, v54, v8
	v_lshlrev_b64 v[10:11], 3, v[10:11]
	v_add_co_ci_u32_e32 v13, vcc_lo, v55, v9, vcc_lo
	v_mov_b32_e32 v15, v3
	v_mov_b32_e32 v9, v19
	s_clause 0x3
	global_load_dwordx2 v[3:4], v[1:2], off
	global_load_dwordx2 v[7:8], v[6:7], off
	;; [unrolled: 1-line block ×4, first 2 shown]
	v_mov_b32_e32 v12, v21
	v_add_nc_u32_e32 v36, 0xb6, v158
	v_lshlrev_b64 v[13:14], 3, v[14:15]
	v_mad_u64_u32 v[15:16], null, s9, v40, v[9:10]
	v_add_co_u32 v9, vcc_lo, v54, v10
	v_add_co_ci_u32_e32 v10, vcc_lo, v55, v11, vcc_lo
	v_mad_u64_u32 v[16:17], null, s9, v22, v[12:13]
	v_mad_u64_u32 v[22:23], null, s8, v41, 0
	v_mov_b32_e32 v19, v15
	v_add_co_u32 v11, vcc_lo, v54, v13
	v_add_co_ci_u32_e32 v12, vcc_lo, v55, v14, vcc_lo
	v_lshlrev_b64 v[14:15], 3, v[18:19]
	v_mov_b32_e32 v13, v23
	v_mov_b32_e32 v21, v16
	v_mov_b32_e32 v159, v38
	v_mad_u64_u32 v[18:19], null, s9, v41, v[13:14]
	v_lshlrev_b64 v[16:17], 3, v[20:21]
	v_mad_u64_u32 v[19:20], null, s8, v30, 0
	v_add_co_u32 v26, vcc_lo, v54, v14
	v_add_co_ci_u32_e32 v27, vcc_lo, v55, v15, vcc_lo
	v_add_co_u32 v28, vcc_lo, v54, v16
	v_mov_b32_e32 v13, v20
	v_add_co_ci_u32_e32 v29, vcc_lo, v55, v17, vcc_lo
	v_mov_b32_e32 v23, v18
	v_mad_u64_u32 v[17:18], null, s8, v42, 0
	v_mad_u64_u32 v[20:21], null, s9, v30, v[13:14]
	s_clause 0x3
	global_load_dwordx2 v[13:14], v[9:10], off
	global_load_dwordx2 v[15:16], v[11:12], off
	;; [unrolled: 1-line block ×4, first 2 shown]
	v_mad_u64_u32 v[26:27], null, s8, v31, 0
	v_lshlrev_b64 v[21:22], 3, v[22:23]
	v_mad_u64_u32 v[28:29], null, s9, v42, v[18:19]
	v_mad_u64_u32 v[29:30], null, s8, v43, 0
	v_lshlrev_b64 v[19:20], 3, v[19:20]
	v_mov_b32_e32 v23, v27
	v_add_co_u32 v21, vcc_lo, v54, v21
	v_mov_b32_e32 v18, v28
	v_add_co_ci_u32_e32 v22, vcc_lo, v55, v22, vcc_lo
	v_mad_u64_u32 v[27:28], null, s9, v31, v[23:24]
	v_mad_u64_u32 v[31:32], null, s8, v36, 0
	v_mov_b32_e32 v23, v30
	v_add_nc_u32_e32 v28, 0xc3, v158
	v_lshlrev_b64 v[17:18], 3, v[17:18]
	v_add_co_u32 v19, vcc_lo, v54, v19
	v_mad_u64_u32 v[33:34], null, s9, v43, v[23:24]
	v_mov_b32_e32 v23, v32
	v_mad_u64_u32 v[34:35], null, s8, v44, 0
	v_lshlrev_b64 v[26:27], 3, v[26:27]
	v_add_co_ci_u32_e32 v20, vcc_lo, v55, v20, vcc_lo
	v_mad_u64_u32 v[45:46], null, s9, v36, v[23:24]
	v_mad_u64_u32 v[46:47], null, s8, v28, 0
	v_mov_b32_e32 v23, v35
	v_add_co_u32 v17, vcc_lo, v54, v17
	v_mov_b32_e32 v30, v33
	v_add_co_ci_u32_e32 v18, vcc_lo, v55, v18, vcc_lo
	v_mad_u64_u32 v[35:36], null, s9, v44, v[23:24]
	v_mov_b32_e32 v23, v47
	v_add_co_u32 v48, vcc_lo, v54, v26
	v_add_co_ci_u32_e32 v49, vcc_lo, v55, v27, vcc_lo
	v_lshlrev_b64 v[26:27], 3, v[29:30]
	v_mad_u64_u32 v[28:29], null, s9, v28, v[23:24]
	v_mov_b32_e32 v32, v45
	v_mov_b32_e32 v23, v39
	;; [unrolled: 1-line block ×3, first 2 shown]
	v_add_co_u32 v50, vcc_lo, v54, v26
	v_lshlrev_b64 v[29:30], 3, v[31:32]
	v_mov_b32_e32 v47, v28
	v_add_co_ci_u32_e32 v51, vcc_lo, v55, v27, vcc_lo
	v_lshlrev_b64 v[26:27], 3, v[34:35]
	v_add_co_u32 v52, vcc_lo, v54, v29
	v_lshlrev_b64 v[28:29], 3, v[46:47]
	v_add_co_ci_u32_e32 v53, vcc_lo, v55, v30, vcc_lo
	v_add_co_u32 v45, vcc_lo, v54, v26
	v_add_co_ci_u32_e32 v46, vcc_lo, v55, v27, vcc_lo
	v_add_co_u32 v54, vcc_lo, v54, v28
	v_add_co_ci_u32_e32 v55, vcc_lo, v55, v29, vcc_lo
	s_clause 0x7
	global_load_dwordx2 v[32:33], v[21:22], off
	global_load_dwordx2 v[34:35], v[19:20], off
	;; [unrolled: 1-line block ×8, first 2 shown]
	v_mov_b32_e32 v45, v41
	v_mov_b32_e32 v46, v42
	;; [unrolled: 1-line block ×4, first 2 shown]
.LBB0_13:
	s_or_b32 exec_lo, exec_lo, s0
.LBB0_14:
	s_waitcnt vmcnt(12)
	v_sub_f32_e32 v5, v1, v5
	v_sub_f32_e32 v6, v2, v6
	v_mov_b32_e32 v152, 3
	v_sub_f32_e32 v7, v3, v7
	v_sub_f32_e32 v8, v4, v8
	v_fma_f32 v38, v1, 2.0, -v5
	v_fma_f32 v39, v2, 2.0, -v6
	v_mul_u32_u24_e32 v2, 0x130, v158
	v_lshlrev_b32_sdwa v1, v152, v37 dst_sel:DWORD dst_unused:UNUSED_PAD src0_sel:DWORD src1_sel:WORD_0
	v_fma_f32 v3, v3, 2.0, -v7
	v_fma_f32 v4, v4, 2.0, -v8
	v_mul_i32_i24_e32 v37, 0x130, v159
	s_waitcnt vmcnt(10)
	v_sub_f32_e32 v15, v13, v15
	v_add3_u32 v2, 0, v2, v1
	v_sub_f32_e32 v16, v14, v16
	v_mul_i32_i24_e32 v40, 0x130, v23
	s_waitcnt vmcnt(8)
	v_sub_f32_e32 v9, v11, v9
	v_sub_f32_e32 v10, v12, v10
	v_add3_u32 v37, 0, v37, v1
	ds_write2_b64 v2, v[3:4], v[7:8] offset1:19
	v_mul_i32_i24_e32 v2, 0x130, v36
	v_fma_f32 v13, v13, 2.0, -v15
	v_fma_f32 v14, v14, 2.0, -v16
	v_add3_u32 v40, 0, v40, v1
	s_waitcnt vmcnt(6)
	v_sub_f32_e32 v34, v32, v34
	v_sub_f32_e32 v35, v33, v35
	v_mul_i32_i24_e32 v3, 0x130, v45
	s_waitcnt vmcnt(4)
	v_sub_f32_e32 v28, v26, v28
	v_sub_f32_e32 v29, v27, v29
	v_mul_i32_i24_e32 v4, 0x130, v46
	v_fma_f32 v11, v11, 2.0, -v9
	v_fma_f32 v12, v12, 2.0, -v10
	s_waitcnt vmcnt(2)
	v_sub_f32_e32 v30, v21, v30
	v_sub_f32_e32 v31, v22, v31
	ds_write2_b64 v37, v[38:39], v[5:6] offset1:19
	ds_write2_b64 v40, v[13:14], v[15:16] offset1:19
	v_add3_u32 v2, 0, v2, v1
	v_mul_i32_i24_e32 v5, 0x130, v47
	s_waitcnt vmcnt(0)
	v_sub_f32_e32 v19, v17, v19
	v_sub_f32_e32 v20, v18, v20
	v_mul_i32_i24_e32 v6, 0x130, v48
	v_fma_f32 v32, v32, 2.0, -v34
	v_fma_f32 v33, v33, 2.0, -v35
	v_add3_u32 v3, 0, v3, v1
	v_fma_f32 v26, v26, 2.0, -v28
	v_fma_f32 v27, v27, 2.0, -v29
	v_add3_u32 v4, 0, v4, v1
	v_fma_f32 v21, v21, 2.0, -v30
	v_fma_f32 v22, v22, 2.0, -v31
	ds_write2_b64 v2, v[11:12], v[9:10] offset1:19
	v_add3_u32 v2, 0, v5, v1
	v_fma_f32 v17, v17, 2.0, -v19
	v_fma_f32 v18, v18, 2.0, -v20
	v_add3_u32 v5, 0, v6, v1
	ds_write2_b64 v3, v[32:33], v[34:35] offset1:19
	ds_write2_b64 v4, v[26:27], v[28:29] offset1:19
	v_and_b32_e32 v3, 1, v159
	v_and_b32_e32 v4, 1, v36
	ds_write2_b64 v2, v[21:22], v[30:31] offset1:19
	ds_write2_b64 v5, v[17:18], v[19:20] offset1:19
	v_and_b32_e32 v5, 1, v46
	v_and_b32_e32 v2, 1, v158
	v_lshlrev_b32_e32 v6, 3, v3
	v_lshlrev_b32_e32 v7, 3, v4
	s_waitcnt lgkmcnt(0)
	v_lshlrev_b32_e32 v8, 3, v5
	v_lshlrev_b32_e32 v9, 3, v2
	s_barrier
	buffer_gl0_inv
	s_clause 0x3
	global_load_dwordx2 v[16:17], v6, s[6:7]
	global_load_dwordx2 v[18:19], v7, s[6:7]
	;; [unrolled: 1-line block ×4, first 2 shown]
	v_and_b32_e32 v6, 1, v48
	v_lshlrev_b32_e32 v15, 1, v158
	v_lshlrev_b32_e32 v30, 1, v23
	;; [unrolled: 1-line block ×6, first 2 shown]
	v_mul_i32_i24_e32 v9, 0x98, v23
	v_lshlrev_b32_e32 v33, 1, v46
	v_lshlrev_b32_e32 v35, 1, v48
	global_load_dwordx2 v[28:29], v7, s[6:7]
	v_mul_u32_u24_e32 v7, 0x98, v158
	v_and_b32_e32 v51, 3, v159
	v_and_b32_e32 v52, 3, v23
	v_and_or_b32 v15, v15, 28, v2
	v_and_or_b32 v30, 0x3ffc, v30, v2
	;; [unrolled: 1-line block ×5, first 2 shown]
	v_add3_u32 v2, 0, v7, v1
	v_mul_i32_i24_e32 v8, 0x98, v159
	v_lshlrev_b32_e32 v22, 1, v159
	v_mul_i32_i24_e32 v10, 0x98, v36
	v_mul_i32_i24_e32 v11, 0x98, v45
	;; [unrolled: 1-line block ×5, first 2 shown]
	v_and_or_b32 v5, 0x3ffc, v33, v5
	v_and_or_b32 v6, 0x3ffc, v35, v6
	v_mul_u32_u24_e32 v33, 3, v51
	v_mul_u32_u24_e32 v34, 3, v52
	v_add3_u32 v56, 0, v9, v1
	v_add_nc_u32_e32 v49, 0x5c00, v2
	v_and_or_b32 v22, 0x3ffc, v22, v3
	v_add3_u32 v3, 0, v8, v1
	v_mul_u32_u24_e32 v15, 0x98, v15
	v_add_nc_u32_e32 v65, 0x6440, v2
	v_mul_u32_u24_e32 v58, 0x98, v4
	v_add_nc_u32_e32 v4, 0x3d80, v2
	v_add_nc_u32_e32 v8, 0x4d00, v2
	v_add3_u32 v54, 0, v10, v1
	v_add3_u32 v55, 0, v11, v1
	;; [unrolled: 1-line block ×5, first 2 shown]
	v_mul_u32_u24_e32 v57, 0x98, v30
	v_mul_u32_u24_e32 v59, 0x98, v31
	;; [unrolled: 1-line block ×5, first 2 shown]
	v_lshlrev_b32_e32 v63, 3, v33
	v_lshlrev_b32_e32 v64, 3, v34
	ds_read_b64 v[30:31], v2
	ds_read_b64 v[32:33], v56
	;; [unrolled: 1-line block ×3, first 2 shown]
	ds_read_b64 v[37:38], v2 offset:29640
	ds_read2_b64 v[4:7], v4 offset0:8 offset1:255
	ds_read2_b64 v[8:11], v8 offset0:6 offset1:253
	ds_read_b64 v[39:40], v54
	ds_read_b64 v[41:42], v55
	;; [unrolled: 1-line block ×5, first 2 shown]
	ds_read2_b32 v[49:50], v49 offset0:40 offset1:41
	v_add3_u32 v66, 0, v15, v1
	ds_read2_b64 v[12:15], v65 offset0:3 offset1:250
	v_mul_u32_u24_e32 v22, 0x98, v22
	v_add3_u32 v57, 0, v57, v1
	v_add3_u32 v58, 0, v58, v1
	v_and_b32_e32 v53, 3, v158
	v_add3_u32 v59, 0, v59, v1
	v_add3_u32 v22, 0, v22, v1
	;; [unrolled: 1-line block ×5, first 2 shown]
	s_waitcnt vmcnt(0) lgkmcnt(0)
	s_barrier
	buffer_gl0_inv
	v_lshlrev_b32_e32 v23, 2, v23
	v_cmp_gt_u32_e64 s0, 57, v0
	s_mov_b32 s16, 0
	v_and_or_b32 v23, 0x7ff0, v23, v52
	v_mul_f32_e32 v67, v17, v7
	v_mul_f32_e32 v17, v17, v6
	;; [unrolled: 1-line block ×16, first 2 shown]
	v_fma_f32 v4, v26, v4, -v68
	v_fmac_f32_e32 v69, v26, v5
	v_fma_f32 v6, v16, v6, -v67
	v_fmac_f32_e32 v17, v16, v7
	;; [unrolled: 2-line block ×8, first 2 shown]
	v_sub_f32_e32 v4, v30, v4
	v_sub_f32_e32 v5, v31, v69
	;; [unrolled: 1-line block ×16, first 2 shown]
	v_fma_f32 v20, v30, 2.0, -v4
	v_fma_f32 v21, v31, 2.0, -v5
	;; [unrolled: 1-line block ×16, first 2 shown]
	ds_write2_b64 v66, v[20:21], v[4:5] offset1:38
	ds_write2_b64 v22, v[26:27], v[6:7] offset1:38
	;; [unrolled: 1-line block ×8, first 2 shown]
	v_and_b32_e32 v20, 3, v36
	v_mul_u32_u24_e32 v12, 3, v53
	s_waitcnt lgkmcnt(0)
	s_barrier
	buffer_gl0_inv
	v_mul_u32_u24_e32 v16, 3, v20
	v_lshlrev_b32_e32 v17, 3, v12
	s_clause 0x4
	global_load_dwordx4 v[4:7], v63, s[6:7] offset:16
	global_load_dwordx4 v[8:11], v64, s[6:7] offset:16
	global_load_dwordx2 v[42:43], v63, s[6:7] offset:32
	global_load_dwordx2 v[44:45], v64, s[6:7] offset:32
	global_load_dwordx4 v[12:15], v17, s[6:7] offset:16
	v_lshlrev_b32_e32 v21, 3, v16
	s_clause 0x2
	global_load_dwordx2 v[46:47], v17, s[6:7] offset:32
	global_load_dwordx4 v[16:19], v21, s[6:7] offset:16
	global_load_dwordx2 v[48:49], v21, s[6:7] offset:32
	v_lshl_or_b32 v21, v158, 2, v158
	v_lshlrev_b32_e32 v22, 2, v159
	v_lshlrev_b32_e32 v26, 2, v36
	v_mul_u32_u24_e32 v32, 0x98, v23
	v_add_nc_u32_e32 v34, 0x3600, v2
	v_and_b32_e32 v21, 51, v21
	v_and_or_b32 v22, 0x7ff0, v22, v51
	v_and_or_b32 v20, 0x7ff0, v26, v20
	v_add_nc_u32_e32 v26, 0x4540, v2
	v_add_nc_u32_e32 v38, 0x54c0, v2
	v_mul_u32_u24_e32 v30, 0x98, v21
	v_add_nc_u32_e32 v21, 0x2680, v2
	v_mul_u32_u24_e32 v31, 0x98, v22
	v_mul_u32_u24_e32 v33, 0x98, v20
	ds_read2_b64 v[26:29], v26 offset0:7 offset1:254
	v_add3_u32 v62, 0, v30, v1
	ds_read2_b64 v[20:23], v21 offset0:3 offset1:250
	v_add3_u32 v63, 0, v31, v1
	v_add3_u32 v64, 0, v32, v1
	;; [unrolled: 1-line block ×3, first 2 shown]
	ds_read2_b64 v[30:33], v65 offset0:3 offset1:250
	ds_read_b64 v[50:51], v2
	ds_read2_b64 v[34:37], v34 offset0:1 offset1:248
	ds_read2_b64 v[38:41], v38 offset0:5 offset1:252
	ds_read_b64 v[52:53], v55
	ds_read_b64 v[54:55], v54
	;; [unrolled: 1-line block ×4, first 2 shown]
	ds_read_b64 v[60:61], v2 offset:29640
	s_waitcnt vmcnt(0) lgkmcnt(0)
	s_barrier
	buffer_gl0_inv
	v_mul_f32_e32 v65, v5, v21
	v_mul_f32_e32 v66, v5, v20
	;; [unrolled: 1-line block ×24, first 2 shown]
	v_fma_f32 v20, v4, v20, -v65
	v_fmac_f32_e32 v66, v4, v21
	v_fma_f32 v4, v26, v6, -v5
	v_fma_f32 v5, v28, v10, -v68
	v_fmac_f32_e32 v11, v29, v10
	v_fma_f32 v10, v12, v52, -v71
	v_fmac_f32_e32 v13, v12, v53
	;; [unrolled: 2-line block ×4, first 2 shown]
	v_fmac_f32_e32 v7, v27, v6
	v_fma_f32 v6, v30, v42, -v69
	v_fmac_f32_e32 v43, v31, v42
	v_fma_f32 v21, v22, v8, -v67
	;; [unrolled: 2-line block ×6, first 2 shown]
	v_fmac_f32_e32 v49, v61, v48
	v_sub_f32_e32 v12, v50, v12
	v_sub_f32_e32 v15, v51, v15
	;; [unrolled: 1-line block ×16, first 2 shown]
	v_fma_f32 v36, v50, 2.0, -v12
	v_fma_f32 v37, v51, 2.0, -v15
	;; [unrolled: 1-line block ×4, first 2 shown]
	v_add_f32_e32 v5, v15, v14
	v_fma_f32 v38, v58, 2.0, -v26
	v_fma_f32 v39, v59, 2.0, -v27
	;; [unrolled: 1-line block ×8, first 2 shown]
	v_sub_f32_e32 v4, v12, v23
	v_fma_f32 v42, v54, 2.0, -v32
	v_fma_f32 v43, v55, 2.0, -v33
	;; [unrolled: 1-line block ×4, first 2 shown]
	v_add_f32_e32 v9, v29, v11
	v_sub_f32_e32 v10, v36, v10
	v_sub_f32_e32 v11, v37, v13
	;; [unrolled: 1-line block ×3, first 2 shown]
	v_add_f32_e32 v7, v27, v7
	v_sub_f32_e32 v8, v28, v8
	v_fma_f32 v13, v15, 2.0, -v5
	v_sub_f32_e32 v14, v38, v14
	v_sub_f32_e32 v15, v39, v19
	;; [unrolled: 1-line block ×3, first 2 shown]
	v_add_f32_e32 v31, v33, v16
	v_sub_f32_e32 v18, v40, v20
	v_sub_f32_e32 v19, v41, v21
	;; [unrolled: 1-line block ×4, first 2 shown]
	v_fma_f32 v12, v12, 2.0, -v4
	v_fma_f32 v22, v36, 2.0, -v10
	;; [unrolled: 1-line block ×15, first 2 shown]
	ds_write2_b64 v62, v[10:11], v[4:5] offset0:152 offset1:228
	ds_write2_b64 v62, v[22:23], v[12:13] offset1:76
	ds_write2_b64 v63, v[28:29], v[16:17] offset1:76
	ds_write2_b64 v63, v[14:15], v[6:7] offset0:152 offset1:228
	ds_write2_b64 v64, v[32:33], v[20:21] offset1:76
	ds_write2_b64 v64, v[18:19], v[8:9] offset0:152 offset1:228
	;; [unrolled: 2-line block ×3, first 2 shown]
	s_waitcnt lgkmcnt(0)
	s_barrier
	buffer_gl0_inv
	ds_read_b64 v[52:53], v2
	ds_read_b64 v[76:77], v2 offset:2432
	ds_read_b64 v[74:75], v2 offset:4864
	;; [unrolled: 1-line block ×12, first 2 shown]
                                        ; implicit-def: $vgpr47
                                        ; implicit-def: $vgpr49
                                        ; implicit-def: $vgpr51
                                        ; implicit-def: $vgpr41
                                        ; implicit-def: $vgpr33
                                        ; implicit-def: $vgpr29
                                        ; implicit-def: $vgpr37
                                        ; implicit-def: $vgpr39
                                        ; implicit-def: $vgpr43
                                        ; implicit-def: $vgpr45
	s_and_saveexec_b32 s17, s0
	s_cbranch_execz .LBB0_16
; %bb.15:
	ds_read_b64 v[26:27], v3
	ds_read_b64 v[34:35], v2 offset:4408
	ds_read_b64 v[30:31], v2 offset:6840
	;; [unrolled: 1-line block ×12, first 2 shown]
.LBB0_16:
	s_or_b32 exec_lo, exec_lo, s17
	v_mul_u32_u24_e32 v0, 12, v158
	s_load_dwordx2 s[4:5], s[4:5], 0x8
	v_mul_lo_u32 v78, v24, v158
	v_or_b32_e32 v161, 16, v158
	v_or_b32_e32 v162, 32, v158
	v_lshlrev_b32_e32 v20, 3, v0
	v_or_b32_e32 v165, 0x50, v158
	v_or_b32_e32 v167, 0x70, v158
	;; [unrolled: 1-line block ×4, first 2 shown]
	s_clause 0x5
	global_load_dwordx4 v[4:7], v20, s[6:7] offset:112
	global_load_dwordx4 v[0:3], v20, s[6:7] offset:128
	;; [unrolled: 1-line block ×6, first 2 shown]
	v_or_b32_e32 v169, 0xa0, v158
	v_or_b32_e32 v170, 0xb0, v158
	v_bfe_u32 v79, v78, 8, 8
	v_or_b32_e32 v164, 48, v158
	v_or_b32_e32 v163, 64, v158
	;; [unrolled: 1-line block ×3, first 2 shown]
	v_mul_lo_u32 v80, v24, v161
	v_mul_lo_u32 v81, v24, v162
	v_lshlrev_b32_sdwa v91, v152, v78 dst_sel:DWORD dst_unused:UNUSED_PAD src0_sel:DWORD src1_sel:BYTE_0
	v_mul_lo_u32 v84, v24, v165
	v_mul_lo_u32 v86, v24, v167
	v_mul_lo_u32 v87, v24, v168
	v_mul_lo_u32 v88, v24, v171
	v_mul_lo_u32 v89, v24, v169
	v_mul_lo_u32 v90, v24, v170
	v_lshl_or_b32 v79, v79, 3, 0x800
	v_mul_lo_u32 v82, v24, v164
	v_mul_lo_u32 v83, v24, v163
	;; [unrolled: 1-line block ×3, first 2 shown]
	s_waitcnt lgkmcnt(0)
	s_clause 0x1
	global_load_dwordx2 v[98:99], v91, s[4:5]
	global_load_dwordx2 v[104:105], v79, s[4:5]
	v_bfe_u32 v78, v78, 16, 8
	v_bfe_u32 v92, v80, 8, 8
	v_bfe_u32 v94, v81, 8, 8
	v_bfe_u32 v79, v84, 8, 8
	v_bfe_u32 v106, v86, 8, 8
	v_bfe_u32 v107, v87, 8, 8
	v_bfe_u32 v108, v88, 8, 8
	v_bfe_u32 v109, v89, 8, 8
	v_bfe_u32 v110, v90, 8, 8
	v_lshlrev_b32_sdwa v93, v152, v80 dst_sel:DWORD dst_unused:UNUSED_PAD src0_sel:DWORD src1_sel:BYTE_0
	v_bfe_u32 v96, v82, 8, 8
	v_bfe_u32 v100, v83, 8, 8
	;; [unrolled: 1-line block ×3, first 2 shown]
	v_lshl_or_b32 v78, v78, 3, 0x1000
	v_lshl_or_b32 v92, v92, 3, 0x800
	v_bfe_u32 v80, v80, 16, 8
	v_lshlrev_b32_sdwa v95, v152, v81 dst_sel:DWORD dst_unused:UNUSED_PAD src0_sel:DWORD src1_sel:BYTE_0
	v_lshlrev_b32_sdwa v97, v152, v82 dst_sel:DWORD dst_unused:UNUSED_PAD src0_sel:DWORD src1_sel:BYTE_0
	v_bfe_u32 v82, v82, 16, 8
	v_lshl_or_b32 v94, v94, 3, 0x800
	v_bfe_u32 v81, v81, 16, 8
	v_lshlrev_b32_sdwa v118, v152, v86 dst_sel:DWORD dst_unused:UNUSED_PAD src0_sel:DWORD src1_sel:BYTE_0
	v_lshlrev_b32_sdwa v120, v152, v87 dst_sel:DWORD dst_unused:UNUSED_PAD src0_sel:DWORD src1_sel:BYTE_0
	v_lshlrev_b32_sdwa v122, v152, v88 dst_sel:DWORD dst_unused:UNUSED_PAD src0_sel:DWORD src1_sel:BYTE_0
	v_lshlrev_b32_sdwa v124, v152, v89 dst_sel:DWORD dst_unused:UNUSED_PAD src0_sel:DWORD src1_sel:BYTE_0
	v_lshlrev_b32_sdwa v146, v152, v90 dst_sel:DWORD dst_unused:UNUSED_PAD src0_sel:DWORD src1_sel:BYTE_0
	v_lshl_or_b32 v79, v79, 3, 0x800
	v_lshl_or_b32 v121, v106, 3, 0x800
	;; [unrolled: 1-line block ×6, first 2 shown]
	v_lshlrev_b32_sdwa v101, v152, v83 dst_sel:DWORD dst_unused:UNUSED_PAD src0_sel:DWORD src1_sel:BYTE_0
	v_lshlrev_b32_sdwa v102, v152, v84 dst_sel:DWORD dst_unused:UNUSED_PAD src0_sel:DWORD src1_sel:BYTE_0
	;; [unrolled: 1-line block ×3, first 2 shown]
	v_lshl_or_b32 v96, v96, 3, 0x800
	v_lshl_or_b32 v100, v100, 3, 0x800
	;; [unrolled: 1-line block ×3, first 2 shown]
	s_clause 0x16
	global_load_dwordx2 v[106:107], v93, s[4:5]
	global_load_dwordx2 v[126:127], v92, s[4:5]
	;; [unrolled: 1-line block ×23, first 2 shown]
	v_bfe_u32 v83, v83, 16, 8
	v_bfe_u32 v84, v84, 16, 8
	v_lshl_or_b32 v80, v80, 3, 0x1000
	v_bfe_u32 v86, v86, 16, 8
	v_lshl_or_b32 v82, v82, 3, 0x1000
	;; [unrolled: 2-line block ×3, first 2 shown]
	v_bfe_u32 v87, v87, 16, 8
	v_bfe_u32 v92, v88, 16, 8
	v_bfe_u32 v150, v90, 16, 8
	v_lshl_or_b32 v83, v83, 3, 0x1000
	s_clause 0x2
	global_load_dwordx2 v[100:101], v80, s[4:5]
	global_load_dwordx2 v[90:91], v82, s[4:5]
	;; [unrolled: 1-line block ×3, first 2 shown]
	v_lshl_or_b32 v80, v84, 3, 0x1000
	v_lshl_or_b32 v81, v86, 3, 0x1000
	v_bfe_u32 v93, v89, 16, 8
	v_lshl_or_b32 v84, v85, 3, 0x1000
	v_lshl_or_b32 v85, v87, 3, 0x1000
	s_clause 0x3
	global_load_dwordx2 v[94:95], v83, s[4:5]
	global_load_dwordx2 v[96:97], v80, s[4:5]
	;; [unrolled: 1-line block ×4, first 2 shown]
	v_lshl_or_b32 v80, v92, 3, 0x1000
	v_lshl_or_b32 v81, v150, 3, 0x1000
	;; [unrolled: 1-line block ×3, first 2 shown]
	s_clause 0x3
	global_load_dwordx2 v[92:93], v85, s[4:5]
	global_load_dwordx2 v[86:87], v80, s[4:5]
	global_load_dwordx2 v[80:81], v81, s[4:5]
	global_load_dwordx2 v[84:85], v84, s[4:5]
	v_or_b32_e32 v172, 0xc0, v158
	s_andn2_b32 vcc_lo, exec_lo, s1
	v_mul_lo_u32 v150, v24, v172
	v_bfe_u32 v151, v150, 8, 8
	s_waitcnt vmcnt(41)
	v_mul_f32_e32 v153, v5, v77
	v_mul_f32_e32 v5, v5, v76
	;; [unrolled: 1-line block ×4, first 2 shown]
	s_waitcnt vmcnt(40)
	v_mul_f32_e32 v155, v1, v73
	s_waitcnt vmcnt(36)
	v_mul_f32_e32 v178, v57, v23
	v_mul_f32_e32 v23, v56, v23
	;; [unrolled: 1-line block ×18, first 2 shown]
	v_fmac_f32_e32 v5, v4, v77
	v_fmac_f32_e32 v23, v57, v22
	v_mul_f32_e32 v19, v58, v19
	v_fma_f32 v76, v4, v76, -v153
	v_fmac_f32_e32 v7, v6, v75
	v_fma_f32 v70, v2, v70, -v1
	v_fmac_f32_e32 v3, v2, v71
	;; [unrolled: 2-line block ×8, first 2 shown]
	v_sub_f32_e32 v55, v5, v23
	v_add_f32_e32 v58, v5, v23
	v_add_f32_e32 v5, v5, v53
	v_fma_f32 v4, v6, v74, -v154
	v_fmac_f32_e32 v181, v0, v73
	v_fmac_f32_e32 v19, v59, v18
	v_fma_f32 v18, v54, v20, -v177
	v_add_f32_e32 v59, v76, v52
	v_add_f32_e32 v5, v5, v7
	v_fma_f32 v6, v0, v72, -v155
	v_add_f32_e32 v157, v3, v17
	v_add_f32_e32 v1, v4, v18
	v_sub_f32_e32 v60, v4, v18
	v_add_f32_e32 v4, v59, v4
	v_add_f32_e32 v5, v5, v181
	v_sub_f32_e32 v65, v3, v17
	v_add_f32_e32 v154, v2, v12
	v_sub_f32_e32 v66, v2, v12
	v_add_f32_e32 v4, v4, v6
	v_add_f32_e32 v3, v5, v3
	v_fma_f32 v22, v56, v22, -v178
	s_waitcnt vmcnt(34)
	v_mul_f32_e32 v20, v99, v105
	v_mul_f32_e32 v54, v98, v105
	v_add_f32_e32 v4, v4, v70
	v_add_f32_e32 v3, v3, v9
	v_sub_f32_e32 v57, v76, v22
	v_add_f32_e32 v56, v76, v22
	v_sub_f32_e32 v61, v7, v21
	v_add_f32_e32 v2, v4, v2
	v_add_f32_e32 v3, v3, v11
	s_waitcnt vmcnt(32)
	v_mul_f32_e32 v69, v107, v127
	v_mul_f32_e32 v71, v106, v127
	s_waitcnt vmcnt(30)
	v_mul_f32_e32 v72, v109, v129
	v_add_f32_e32 v2, v2, v8
	v_add_f32_e32 v3, v3, v13
	v_mul_f32_e32 v73, v108, v129
	s_waitcnt vmcnt(28)
	v_mul_f32_e32 v74, v111, v131
	v_mul_f32_e32 v75, v110, v131
	v_add_f32_e32 v2, v2, v10
	v_add_f32_e32 v3, v3, v15
	s_waitcnt vmcnt(26)
	v_mul_f32_e32 v76, v113, v133
	v_mul_f32_e32 v77, v112, v133
	s_waitcnt vmcnt(24)
	v_mul_f32_e32 v105, v115, v135
	v_mul_f32_e32 v127, v114, v135
	;; [unrolled: 3-line block ×3, first 2 shown]
	s_waitcnt vmcnt(20)
	v_mul_f32_e32 v133, v119, v139
	v_fma_f32 v20, v98, v104, -v20
	v_fmac_f32_e32 v54, v99, v104
	v_mul_f32_e32 v98, 0xbeedf032, v55
	v_mul_f32_e32 v99, 0xbf52af12, v55
	;; [unrolled: 1-line block ×7, first 2 shown]
	v_add_f32_e32 v2, v2, v12
	v_add_f32_e32 v3, v3, v17
	;; [unrolled: 1-line block ×3, first 2 shown]
	v_sub_f32_e32 v62, v6, v16
	v_mul_f32_e32 v135, v118, v139
	s_waitcnt vmcnt(18)
	v_mul_f32_e32 v137, v121, v141
	v_mul_f32_e32 v139, v120, v141
	s_waitcnt vmcnt(16)
	v_mul_f32_e32 v141, v123, v143
	;; [unrolled: 3-line block ×3, first 2 shown]
	v_mul_f32_e32 v145, v124, v145
	v_mul_f32_e32 v187, 0xbf52af12, v57
	v_mul_f32_e32 v188, 0xbf7e222b, v57
	v_mul_f32_e32 v189, 0xbf6f5d39, v57
	v_mul_f32_e32 v190, 0xbf29c268, v57
	v_mul_f32_e32 v57, 0xbe750f2a, v57
	v_mul_f32_e32 v7, 0xbf52af12, v61
	v_mul_f32_e32 v59, 0xbf52af12, v60
	v_fma_f32 v69, v106, v126, -v69
	v_fmac_f32_e32 v71, v107, v126
	v_fma_f32 v76, v112, v132, -v76
	v_fmac_f32_e32 v77, v113, v132
	;; [unrolled: 2-line block ×4, first 2 shown]
	v_fma_f32 v107, v118, v138, -v133
	s_waitcnt vmcnt(11)
	v_mul_f32_e32 v112, v54, v79
	v_mul_f32_e32 v79, v20, v79
	v_fma_f32 v113, 0x3f62ad3f, v56, -v98
	v_fmac_f32_e32 v98, 0x3f62ad3f, v56
	v_fma_f32 v114, 0x3f116cb1, v56, -v99
	v_fmac_f32_e32 v99, 0x3f116cb1, v56
	;; [unrolled: 2-line block ×6, first 2 shown]
	v_fmamk_f32 v56, v58, 0x3f62ad3f, v186
	v_add_f32_e32 v2, v2, v14
	v_add_f32_e32 v3, v3, v19
	;; [unrolled: 1-line block ×4, first 2 shown]
	v_sub_f32_e32 v63, v181, v19
	v_sub_f32_e32 v64, v70, v14
	v_mul_f32_e32 v179, 0xbf7e222b, v62
	v_fma_f32 v72, v108, v128, -v72
	v_fmac_f32_e32 v73, v109, v128
	v_fma_f32 v74, v110, v130, -v74
	v_fmac_f32_e32 v135, v119, v138
	v_fma_f32 v108, v120, v140, -v137
	v_fmac_f32_e32 v139, v121, v140
	v_fma_f32 v109, v122, v142, -v141
	v_fmac_f32_e32 v143, v123, v142
	v_fma_f32 v110, v124, v144, -v182
	v_fmac_f32_e32 v145, v125, v144
	v_fma_f32 v119, 0x3f62ad3f, v58, -v186
	v_fmamk_f32 v120, v58, 0x3f116cb1, v187
	v_fma_f32 v121, 0x3f116cb1, v58, -v187
	v_fmamk_f32 v122, v58, 0x3df6dbef, v188
	;; [unrolled: 2-line block ×5, first 2 shown]
	v_fma_f32 v57, 0xbf788fa5, v58, -v57
	v_fma_f32 v6, 0x3f116cb1, v1, -v7
	v_fmamk_f32 v58, v0, 0x3f116cb1, v59
	v_fmac_f32_e32 v79, v78, v54
	v_add_f32_e32 v5, v113, v52
	v_add_f32_e32 v54, v56, v53
	v_add_f32_e32 v2, v2, v16
	v_add_f32_e32 v3, v3, v21
	v_mul_f32_e32 v180, 0xbf7e222b, v63
	v_mul_f32_e32 v177, 0xbf6f5d39, v64
	v_fmamk_f32 v132, v174, 0x3df6dbef, v179
	v_add_f32_e32 v2, v2, v18
	v_add_f32_e32 v5, v6, v5
	v_add_f32_e32 v6, v58, v54
	v_add_f32_e32 v3, v3, v23
	v_add_f32_e32 v156, v70, v14
	v_add_f32_e32 v155, v9, v15
	v_sub_f32_e32 v67, v9, v15
	v_sub_f32_e32 v68, v8, v10
	v_mul_f32_e32 v178, 0xbf6f5d39, v65
	v_mul_f32_e32 v176, 0xbf29c268, v66
	v_fmac_f32_e32 v75, v111, v130
	v_fma_f32 v130, 0x3df6dbef, v173, -v180
	v_fmamk_f32 v136, v157, 0xbeb58ec6, v177
	s_waitcnt vmcnt(0)
	v_mul_f32_e32 v186, v145, v85
	v_fma_f32 v20, v78, v20, -v112
	v_add_f32_e32 v2, v2, v22
	v_add_f32_e32 v6, v132, v6
	v_mul_f32_e32 v16, v3, v79
	v_mul_f32_e32 v183, v147, v149
	v_mul_f32_e32 v149, v146, v149
	v_mul_f32_e32 v175, 0xbf29c268, v67
	v_fma_f32 v134, 0xbeb58ec6, v156, -v178
	v_mul_f32_e32 v133, v71, v101
	v_add_f32_e32 v56, v98, v52
	v_add_f32_e32 v70, v119, v53
	;; [unrolled: 1-line block ×13, first 2 shown]
	v_fma_f32 v52, v84, v110, -v186
	v_add_f32_e32 v5, v130, v5
	v_add_f32_e32 v6, v136, v6
	v_fma_f32 v132, v2, v20, -v16
	v_fmamk_f32 v16, v155, 0xbf3f9e67, v176
	v_add_f32_e32 v184, v11, v13
	v_mul_f32_e32 v186, 0xbe750f2a, v68
	v_sub_f32_e32 v11, v11, v13
	v_add_f32_e32 v153, v8, v10
	v_fma_f32 v111, v146, v148, -v183
	v_fmac_f32_e32 v149, v147, v148
	v_fma_f32 v137, 0xbf3f9e67, v154, -v175
	v_mul_f32_e32 v101, v69, v101
	v_fma_f32 v69, v100, v69, -v133
	v_mul_f32_e32 v133, v2, v79
	v_add_f32_e32 v5, v134, v5
	v_add_f32_e32 v6, v16, v6
	v_fmamk_f32 v16, v184, 0xbf788fa5, v186
	v_mul_f32_e32 v185, 0xbe750f2a, v11
	v_mul_f32_e32 v17, 0xbf6f5d39, v61
	;; [unrolled: 1-line block ×6, first 2 shown]
	v_add_f32_e32 v81, v120, v53
	v_fmac_f32_e32 v133, v3, v20
	v_add_f32_e32 v5, v137, v5
	v_add_f32_e32 v6, v16, v6
	v_fma_f32 v16, 0xbf788fa5, v153, -v185
	v_fma_f32 v19, 0xbeb58ec6, v1, -v17
	v_fmamk_f32 v20, v0, 0xbeb58ec6, v18
	v_mul_f32_e32 v192, 0xbe750f2a, v63
	v_mul_f32_e32 v194, 0xbe750f2a, v62
	v_add_f32_e32 v5, v16, v5
	v_add_f32_e32 v16, v19, v78
	;; [unrolled: 1-line block ×3, first 2 shown]
	v_fma_f32 v20, 0xbf788fa5, v173, -v192
	v_fmamk_f32 v21, v174, 0xbf788fa5, v194
	v_mul_f32_e32 v191, 0x3f29c268, v65
	v_mul_f32_e32 v193, 0x3f29c268, v64
	v_fmac_f32_e32 v101, v100, v71
	v_add_f32_e32 v16, v20, v16
	v_add_f32_e32 v19, v21, v19
	v_fma_f32 v20, 0xbf3f9e67, v156, -v191
	v_fmamk_f32 v21, v157, 0xbf3f9e67, v193
	v_mul_f32_e32 v190, 0x3f7e222b, v66
	v_mul_f32_e32 v22, v6, v101
	;; [unrolled: 1-line block ×3, first 2 shown]
	v_add_f32_e32 v16, v20, v16
	v_add_f32_e32 v19, v21, v19
	v_fmamk_f32 v20, v155, 0x3df6dbef, v190
	v_mul_f32_e32 v137, v5, v101
	v_mul_f32_e32 v189, 0x3f7e222b, v67
	v_fma_f32 v136, v5, v69, -v22
	v_mul_f32_e32 v138, v73, v103
	v_add_f32_e32 v5, v20, v19
	v_fmamk_f32 v19, v184, 0x3f62ad3f, v188
	v_mul_f32_e32 v20, 0xbe750f2a, v60
	v_mul_f32_e32 v103, v72, v103
	v_fma_f32 v21, 0x3df6dbef, v154, -v189
	v_mul_f32_e32 v187, 0x3eedf032, v11
	v_fmac_f32_e32 v137, v6, v69
	v_add_f32_e32 v5, v19, v5
	v_mul_f32_e32 v6, 0xbe750f2a, v61
	v_fmamk_f32 v19, v0, 0xbf788fa5, v20
	v_mul_f32_e32 v202, 0x3f6f5d39, v62
	v_fmac_f32_e32 v103, v102, v73
	v_add_f32_e32 v16, v21, v16
	v_fma_f32 v21, 0x3f62ad3f, v153, -v187
	v_fma_f32 v22, 0xbf788fa5, v1, -v6
	v_add_f32_e32 v19, v19, v113
	v_mul_f32_e32 v201, 0x3f6f5d39, v63
	v_fmamk_f32 v23, v174, 0xbeb58ec6, v202
	v_mul_f32_e32 v200, 0x3eedf032, v64
	v_mul_f32_e32 v146, v135, v83
	;; [unrolled: 1-line block ×3, first 2 shown]
	v_fma_f32 v4, v102, v72, -v138
	v_add_f32_e32 v16, v21, v16
	v_mul_f32_e32 v21, v5, v103
	v_add_f32_e32 v22, v22, v112
	v_fma_f32 v54, 0xbeb58ec6, v173, -v201
	v_add_f32_e32 v19, v23, v19
	v_mul_f32_e32 v199, 0x3eedf032, v65
	v_fmamk_f32 v23, v157, 0x3f62ad3f, v200
	v_mul_f32_e32 v197, 0xbf52af12, v66
	v_fmac_f32_e32 v83, v82, v135
	v_mul_f32_e32 v135, v16, v103
	v_fma_f32 v134, v16, v4, -v21
	v_add_f32_e32 v16, v54, v22
	v_fma_f32 v21, 0x3f62ad3f, v156, -v199
	v_add_f32_e32 v19, v23, v19
	v_mul_f32_e32 v195, 0xbf52af12, v67
	v_fmamk_f32 v22, v155, 0x3f116cb1, v197
	v_mul_f32_e32 v198, 0xbf29c268, v68
	v_fmac_f32_e32 v135, v5, v4
	v_add_f32_e32 v4, v21, v16
	v_fma_f32 v5, 0x3f116cb1, v154, -v195
	v_add_f32_e32 v16, v22, v19
	v_fmamk_f32 v19, v184, 0xbf3f9e67, v198
	v_mul_f32_e32 v196, 0xbf29c268, v11
	v_mul_f32_e32 v21, 0x3f29c268, v61
	;; [unrolled: 1-line block ×3, first 2 shown]
	v_add_f32_e32 v116, v124, v53
	v_add_f32_e32 v4, v5, v4
	;; [unrolled: 1-line block ×3, first 2 shown]
	v_fma_f32 v16, 0xbf3f9e67, v153, -v196
	v_fma_f32 v19, 0xbf3f9e67, v1, -v21
	v_fmamk_f32 v23, v0, 0xbf3f9e67, v22
	v_mul_f32_e32 v54, 0x3eedf032, v63
	v_mul_f32_e32 v58, 0x3eedf032, v62
	;; [unrolled: 1-line block ×4, first 2 shown]
	v_add_f32_e32 v4, v16, v4
	v_add_f32_e32 v16, v19, v115
	;; [unrolled: 1-line block ×3, first 2 shown]
	v_fma_f32 v23, 0x3f62ad3f, v173, -v54
	v_fmamk_f32 v69, v174, 0x3f62ad3f, v58
	v_mul_f32_e32 v71, 0xbf7e222b, v65
	v_mul_f32_e32 v72, 0xbf7e222b, v64
	;; [unrolled: 1-line block ×4, first 2 shown]
	v_fma_f32 v8, v90, v74, -v140
	v_fmac_f32_e32 v91, v90, v75
	v_add_f32_e32 v16, v23, v16
	v_add_f32_e32 v19, v69, v19
	v_fma_f32 v23, 0x3df6dbef, v156, -v71
	v_fmamk_f32 v69, v157, 0x3df6dbef, v72
	v_mul_f32_e32 v74, 0x3e750f2a, v66
	v_mul_f32_e32 v75, 0x3e750f2a, v67
	;; [unrolled: 1-line block ×4, first 2 shown]
	v_fma_f32 v9, v94, v76, -v141
	v_fmac_f32_e32 v95, v94, v77
	v_mul_f32_e32 v73, v5, v91
	v_add_f32_e32 v16, v23, v16
	v_add_f32_e32 v19, v69, v19
	v_fmamk_f32 v23, v155, 0xbf788fa5, v74
	v_mul_f32_e32 v69, 0x3f52af12, v68
	v_fma_f32 v76, 0xbf788fa5, v154, -v75
	v_mul_f32_e32 v77, 0x3f52af12, v11
	v_fmac_f32_e32 v93, v92, v139
	v_mul_f32_e32 v139, v4, v91
	v_fma_f32 v138, v4, v8, -v73
	v_add_f32_e32 v4, v23, v19
	v_fmamk_f32 v19, v184, 0x3f116cb1, v69
	v_add_f32_e32 v16, v76, v16
	v_fma_f32 v23, 0x3f116cb1, v153, -v77
	v_mul_f32_e32 v73, 0x3f7e222b, v60
	v_add_f32_e32 v99, v121, v53
	v_add_f32_e32 v121, v126, v53
	v_fmac_f32_e32 v139, v5, v8
	v_add_f32_e32 v4, v19, v4
	v_mul_f32_e32 v5, 0x3f7e222b, v61
	v_add_f32_e32 v8, v23, v16
	v_fmamk_f32 v16, v0, 0x3df6dbef, v73
	v_mul_f32_e32 v19, 0xbf52af12, v62
	v_add_f32_e32 v114, v123, v53
	v_add_f32_e32 v120, v125, v53
	;; [unrolled: 1-line block ×5, first 2 shown]
	v_fma_f32 v53, v80, v111, -v85
	v_fmac_f32_e32 v182, v80, v149
	v_fma_f32 v76, 0x3df6dbef, v1, -v5
	v_mul_f32_e32 v78, 0xbf52af12, v63
	v_add_f32_e32 v16, v16, v121
	v_fmamk_f32 v79, v174, 0x3f116cb1, v19
	v_mul_f32_e32 v80, 0x3e750f2a, v64
	v_mul_f32_e32 v148, v143, v87
	;; [unrolled: 1-line block ×3, first 2 shown]
	v_fma_f32 v15, v82, v107, -v146
	v_fmac_f32_e32 v181, v84, v145
	v_add_f32_e32 v76, v76, v117
	v_fma_f32 v81, 0x3f116cb1, v173, -v78
	v_mul_f32_e32 v82, 0x3e750f2a, v65
	v_add_f32_e32 v16, v79, v16
	v_fmamk_f32 v79, v157, 0xbf788fa5, v80
	v_mul_f32_e32 v84, 0x3eedf032, v66
	v_mul_f32_e32 v144, v131, v89
	;; [unrolled: 1-line block ×3, first 2 shown]
	v_fma_f32 v183, v86, v109, -v148
	v_fmac_f32_e32 v87, v86, v143
	v_mul_f32_e32 v23, v4, v95
	v_add_f32_e32 v76, v81, v76
	v_fma_f32 v81, 0xbf788fa5, v156, -v82
	v_mul_f32_e32 v85, 0x3eedf032, v67
	v_add_f32_e32 v16, v79, v16
	v_fmamk_f32 v79, v155, 0x3f62ad3f, v84
	v_mul_f32_e32 v86, 0xbf6f5d39, v68
	v_mul_f32_e32 v141, v8, v95
	v_fma_f32 v12, v88, v106, -v144
	v_fmac_f32_e32 v89, v88, v131
	v_add_f32_e32 v76, v81, v76
	v_fma_f32 v81, 0x3f62ad3f, v154, -v85
	v_mul_f32_e32 v88, 0xbf6f5d39, v11
	v_add_f32_e32 v16, v79, v16
	v_fmamk_f32 v79, v184, 0xbeb58ec6, v86
	v_fma_f32 v140, v8, v9, -v23
	v_fmac_f32_e32 v141, v4, v9
	v_mul_f32_e32 v9, 0x3eedf032, v60
	v_mul_f32_e32 v142, v127, v97
	;; [unrolled: 1-line block ×3, first 2 shown]
	v_add_f32_e32 v76, v81, v76
	v_fma_f32 v81, 0xbeb58ec6, v153, -v88
	v_add_f32_e32 v8, v79, v16
	v_mul_f32_e32 v16, 0x3eedf032, v61
	v_mul_f32_e32 v61, 0xbf29c268, v63
	v_fmamk_f32 v63, v0, 0x3f62ad3f, v9
	v_mul_f32_e32 v62, 0xbf29c268, v62
	v_fmac_f32_e32 v97, v96, v127
	v_add_f32_e32 v4, v81, v76
	v_fma_f32 v60, 0x3f62ad3f, v1, -v16
	v_add_f32_e32 v63, v63, v124
	v_fmamk_f32 v79, v174, 0xbf3f9e67, v62
	v_mul_f32_e32 v64, 0x3f52af12, v64
	v_fma_f32 v10, v96, v105, -v142
	v_mul_f32_e32 v23, v8, v97
	v_mul_f32_e32 v143, v4, v97
	v_add_f32_e32 v60, v60, v118
	v_fma_f32 v76, 0xbf3f9e67, v173, -v61
	v_mul_f32_e32 v65, 0x3f52af12, v65
	v_add_f32_e32 v63, v79, v63
	v_fmamk_f32 v79, v157, 0x3f116cb1, v64
	v_mul_f32_e32 v66, 0xbf6f5d39, v66
	v_add_f32_e32 v60, v76, v60
	v_fma_f32 v76, 0x3f116cb1, v156, -v65
	v_mul_f32_e32 v67, 0xbf6f5d39, v67
	v_fma_f32 v142, v4, v10, -v23
	v_add_f32_e32 v4, v79, v63
	v_fmamk_f32 v23, v155, 0xbeb58ec6, v66
	v_fmac_f32_e32 v143, v8, v10
	v_mul_f32_e32 v10, 0x3f7e222b, v68
	v_fmac_f32_e32 v16, 0x3f62ad3f, v1
	v_add_f32_e32 v60, v76, v60
	v_fma_f32 v76, 0xbeb58ec6, v154, -v67
	v_add_f32_e32 v4, v23, v4
	v_mul_f32_e32 v11, 0x3f7e222b, v11
	v_fma_f32 v9, 0x3f62ad3f, v0, -v9
	v_fmamk_f32 v23, v184, 0x3df6dbef, v10
	v_add_f32_e32 v16, v16, v55
	v_fmac_f32_e32 v61, 0xbf3f9e67, v173
	v_add_f32_e32 v8, v76, v60
	v_fma_f32 v55, 0x3df6dbef, v153, -v11
	v_add_f32_e32 v9, v9, v57
	v_fma_f32 v57, 0xbf3f9e67, v174, -v62
	v_add_f32_e32 v4, v23, v4
	v_add_f32_e32 v16, v61, v16
	v_fmac_f32_e32 v65, 0x3f116cb1, v156
	v_add_f32_e32 v8, v55, v8
	v_add_f32_e32 v9, v57, v9
	v_fma_f32 v23, 0x3f116cb1, v157, -v64
	v_mul_f32_e32 v55, v4, v89
	v_add_f32_e32 v16, v65, v16
	v_fmac_f32_e32 v67, 0xbeb58ec6, v154
	v_lshlrev_b32_sdwa v2, v152, v150 dst_sel:DWORD dst_unused:UNUSED_PAD src0_sel:DWORD src1_sel:BYTE_0
	v_lshl_or_b32 v3, v151, 3, 0x800
	v_bfe_u32 v13, v150, 16, 8
	v_mul_f32_e32 v151, v8, v89
	v_add_f32_e32 v9, v23, v9
	v_fma_f32 v23, 0xbeb58ec6, v155, -v66
	v_fma_f32 v150, v8, v12, -v55
	v_add_f32_e32 v8, v67, v16
	v_fma_f32 v16, 0x3df6dbef, v0, -v73
	v_fmac_f32_e32 v5, 0x3df6dbef, v1
	v_add_f32_e32 v9, v23, v9
	v_fma_f32 v10, 0x3df6dbef, v184, -v10
	v_fma_f32 v19, 0x3f116cb1, v174, -v19
	v_add_f32_e32 v16, v16, v123
	v_fmac_f32_e32 v11, 0x3df6dbef, v153
	v_add_f32_e32 v5, v5, v122
	v_fmac_f32_e32 v78, 0x3f116cb1, v173
	v_fmac_f32_e32 v151, v4, v12
	v_add_f32_e32 v4, v10, v9
	v_add_f32_e32 v9, v19, v16
	v_fma_f32 v10, 0xbf788fa5, v157, -v80
	v_fmac_f32_e32 v21, 0xbf3f9e67, v1
	v_add_f32_e32 v8, v11, v8
	v_add_f32_e32 v5, v78, v5
	v_fmac_f32_e32 v82, 0xbf788fa5, v156
	v_add_f32_e32 v9, v10, v9
	v_fma_f32 v16, 0x3f62ad3f, v155, -v84
	v_add_f32_e32 v19, v21, v119
	v_fmac_f32_e32 v54, 0x3f62ad3f, v173
	v_fma_f32 v12, 0xbf3f9e67, v0, -v22
	v_mul_f32_e32 v149, v8, v83
	v_add_f32_e32 v5, v82, v5
	v_fmac_f32_e32 v85, 0x3f62ad3f, v154
	v_add_f32_e32 v9, v16, v9
	v_add_f32_e32 v16, v54, v19
	v_fma_f32 v19, 0xbeb58ec6, v184, -v86
	v_add_f32_e32 v10, v12, v120
	v_fma_f32 v12, 0x3f62ad3f, v174, -v58
	v_mul_f32_e32 v11, v4, v83
	v_fmac_f32_e32 v149, v4, v15
	v_fmac_f32_e32 v7, 0x3f116cb1, v1
	v_and_b32_e32 v4, 15, v159
	v_add_f32_e32 v5, v85, v5
	v_fmac_f32_e32 v88, 0xbeb58ec6, v153
	v_add_f32_e32 v9, v19, v9
	v_add_f32_e32 v10, v12, v10
	v_fma_f32 v12, 0x3df6dbef, v157, -v72
	v_fmac_f32_e32 v71, 0x3df6dbef, v156
	v_add_f32_e32 v210, v7, v56
	v_mul_lo_u32 v7, v24, v4
	v_fma_f32 v14, v92, v108, -v147
	v_add_f32_e32 v5, v88, v5
	v_fma_f32 v148, v8, v15, -v11
	v_mul_f32_e32 v8, v9, v93
	v_add_f32_e32 v10, v12, v10
	v_fma_f32 v12, 0xbf788fa5, v155, -v74
	v_add_f32_e32 v16, v71, v16
	v_fmac_f32_e32 v75, 0xbf788fa5, v154
	v_fmac_f32_e32 v6, 0xbf788fa5, v1
	v_mul_f32_e32 v147, v5, v93
	v_fma_f32 v146, v5, v14, -v8
	v_fma_f32 v5, 0x3f116cb1, v0, -v59
	v_fmac_f32_e32 v17, 0xbeb58ec6, v1
	v_fma_f32 v1, 0xbeb58ec6, v0, -v18
	v_fma_f32 v0, 0xbf788fa5, v0, -v20
	v_add_f32_e32 v10, v12, v10
	v_fma_f32 v12, 0x3f116cb1, v184, -v69
	v_add_f32_e32 v16, v75, v16
	v_fmac_f32_e32 v77, 0x3f116cb1, v153
	v_add_f32_e32 v214, v6, v104
	v_bfe_u32 v6, v7, 8, 8
	v_or_b32_e32 v8, 32, v4
	v_lshl_or_b32 v13, v13, 3, 0x1000
	v_add_f32_e32 v215, v0, v114
	v_lshlrev_b32_sdwa v0, v152, v7 dst_sel:DWORD dst_unused:UNUSED_PAD src0_sel:DWORD src1_sel:BYTE_0
	v_add_f32_e32 v213, v1, v99
	v_or_b32_e32 v1, 16, v4
	v_add_f32_e32 v209, v12, v10
	v_add_f32_e32 v10, v77, v16
	;; [unrolled: 1-line block ×3, first 2 shown]
	v_mul_u32_u24_e32 v5, 12, v4
	s_clause 0x3
	global_load_dwordx2 v[203:204], v2, s[4:5]
	global_load_dwordx2 v[205:206], v3, s[4:5]
	;; [unrolled: 1-line block ×4, first 2 shown]
	v_lshl_or_b32 v0, v6, 3, 0x800
	v_mul_lo_u32 v2, v24, v8
	v_or_b32_e32 v6, 48, v4
	v_or_b32_e32 v8, 64, v4
	v_or_b32_e32 v15, 0x50, v4
	v_or_b32_e32 v16, 0x60, v4
	v_or_b32_e32 v18, 0x70, v4
	v_or_b32_e32 v22, 0x80, v4
	v_or_b32_e32 v56, 0x90, v4
	v_or_b32_e32 v57, 0xa0, v4
	v_or_b32_e32 v60, 0xb0, v4
	v_or_b32_e32 v4, 0xc0, v4
	v_mul_lo_u32 v1, v24, v1
	v_mul_lo_u32 v6, v24, v6
	;; [unrolled: 1-line block ×11, first 2 shown]
	v_bfe_u32 v7, v7, 16, 8
	v_mul_f32_e32 v11, v209, v87
	v_fmac_f32_e32 v147, v9, v14
	v_mul_f32_e32 v145, v10, v87
	v_add_f32_e32 v212, v17, v98
	v_lshl_or_b32 v3, v7, 3, 0x1000
	v_bfe_u32 v7, v1, 8, 8
	v_fma_f32 v144, v10, v183, -v11
	v_lshlrev_b32_sdwa v9, v152, v1 dst_sel:DWORD dst_unused:UNUSED_PAD src0_sel:DWORD src1_sel:BYTE_0
	v_bfe_u32 v1, v1, 16, 8
	v_bfe_u32 v10, v2, 8, 8
	v_lshlrev_b32_sdwa v11, v152, v2 dst_sel:DWORD dst_unused:UNUSED_PAD src0_sel:DWORD src1_sel:BYTE_0
	v_bfe_u32 v2, v2, 16, 8
	v_bfe_u32 v12, v6, 8, 8
	;; [unrolled: 1-line block ×4, first 2 shown]
	v_lshlrev_b32_sdwa v6, v152, v6 dst_sel:DWORD dst_unused:UNUSED_PAD src0_sel:DWORD src1_sel:BYTE_0
	v_bfe_u32 v17, v8, 16, 8
	v_lshlrev_b32_sdwa v8, v152, v8 dst_sel:DWORD dst_unused:UNUSED_PAD src0_sel:DWORD src1_sel:BYTE_0
	v_bfe_u32 v19, v15, 8, 8
	v_bfe_u32 v20, v15, 16, 8
	v_lshlrev_b32_sdwa v15, v152, v15 dst_sel:DWORD dst_unused:UNUSED_PAD src0_sel:DWORD src1_sel:BYTE_0
	v_bfe_u32 v21, v16, 8, 8
	;; [unrolled: 3-line block ×5, first 2 shown]
	v_bfe_u32 v64, v56, 16, 8
	v_bfe_u32 v65, v57, 8, 8
	v_lshlrev_b32_sdwa v56, v152, v56 dst_sel:DWORD dst_unused:UNUSED_PAD src0_sel:DWORD src1_sel:BYTE_0
	v_lshlrev_b32_sdwa v66, v152, v57 dst_sel:DWORD dst_unused:UNUSED_PAD src0_sel:DWORD src1_sel:BYTE_0
	v_bfe_u32 v57, v57, 16, 8
	v_lshlrev_b32_sdwa v67, v152, v60 dst_sel:DWORD dst_unused:UNUSED_PAD src0_sel:DWORD src1_sel:BYTE_0
	v_bfe_u32 v68, v60, 8, 8
	v_bfe_u32 v60, v60, 16, 8
	v_lshlrev_b32_sdwa v152, v152, v4 dst_sel:DWORD dst_unused:UNUSED_PAD src0_sel:DWORD src1_sel:BYTE_0
	v_bfe_u32 v69, v4, 8, 8
	v_bfe_u32 v4, v4, 16, 8
	v_lshl_or_b32 v7, v7, 3, 0x800
	v_lshlrev_b32_e32 v5, 3, v5
	v_lshl_or_b32 v1, v1, 3, 0x1000
	v_lshl_or_b32 v10, v10, 3, 0x800
	;; [unrolled: 1-line block ×23, first 2 shown]
	s_clause 0x25
	global_load_dwordx2 v[130:131], v0, s[4:5]
	global_load_dwordx2 v[124:125], v3, s[4:5]
	;; [unrolled: 1-line block ×38, first 2 shown]
	s_clause 0x5
	global_load_dwordx4 v[8:11], v5, s[6:7] offset:160
	global_load_dwordx4 v[12:15], v5, s[6:7] offset:144
	;; [unrolled: 1-line block ×6, first 2 shown]
	v_fmac_f32_e32 v180, 0x3df6dbef, v173
	v_fma_f32 v179, 0x3df6dbef, v174, -v179
	v_fmac_f32_e32 v192, 0xbf788fa5, v173
	v_fmac_f32_e32 v201, 0xbeb58ec6, v173
	v_fma_f32 v173, 0xbf788fa5, v174, -v194
	v_fma_f32 v174, 0xbeb58ec6, v174, -v202
	v_add_f32_e32 v152, v180, v210
	v_fmac_f32_e32 v178, 0xbeb58ec6, v156
	v_fmac_f32_e32 v191, 0xbf3f9e67, v156
	;; [unrolled: 1-line block ×3, first 2 shown]
	v_add_f32_e32 v174, v174, v215
	v_fma_f32 v156, 0x3f62ad3f, v157, -v200
	v_add_f32_e32 v179, v179, v211
	v_add_f32_e32 v180, v192, v212
	;; [unrolled: 1-line block ×5, first 2 shown]
	v_fma_f32 v177, 0xbeb58ec6, v157, -v177
	v_fma_f32 v178, 0xbf3f9e67, v157, -v193
	v_add_f32_e32 v156, v156, v174
	v_fma_f32 v174, 0x3f116cb1, v155, -v197
	v_fmac_f32_e32 v175, 0xbf3f9e67, v154
	v_add_f32_e32 v157, v177, v179
	v_add_f32_e32 v173, v178, v173
	;; [unrolled: 1-line block ×3, first 2 shown]
	v_fma_f32 v176, 0xbf3f9e67, v155, -v176
	v_fmac_f32_e32 v189, 0x3df6dbef, v154
	v_fma_f32 v155, 0x3df6dbef, v155, -v190
	v_fmac_f32_e32 v195, 0x3f116cb1, v154
	v_add_f32_e32 v154, v174, v156
	v_fma_f32 v156, 0xbf3f9e67, v184, -v198
	v_add_f32_e32 v177, v191, v180
	v_add_f32_e32 v157, v176, v157
	;; [unrolled: 1-line block ×4, first 2 shown]
	v_fmac_f32_e32 v196, 0xbf3f9e67, v153
	v_add_f32_e32 v154, v156, v154
	v_fma_f32 v156, 0xbf788fa5, v184, -v186
	v_add_f32_e32 v152, v175, v152
	v_add_f32_e32 v174, v189, v177
	;; [unrolled: 1-line block ×3, first 2 shown]
	v_mul_f32_e32 v175, v154, v181
	v_add_f32_e32 v177, v156, v157
	v_fma_f32 v157, 0x3f62ad3f, v184, -v188
	v_fmac_f32_e32 v185, 0xbf788fa5, v153
	v_fmac_f32_e32 v187, 0x3f62ad3f, v153
	v_fma_f32 v156, v173, v52, -v175
	v_fmac_f32_e32 v145, v209, v183
	v_add_f32_e32 v175, v157, v155
	v_mul_f32_e32 v157, v173, v181
	v_add_f32_e32 v174, v187, v174
	v_mul_f32_e32 v173, v175, v182
	v_fmac_f32_e32 v157, v154, v52
	v_mul_f32_e32 v153, v174, v182
	v_fmac_f32_e32 v153, v175, v53
	s_waitcnt vmcnt(46)
	v_mul_f32_e32 v176, v204, v206
	v_mul_f32_e32 v178, v203, v206
	v_fma_f32 v176, v203, v205, -v176
	v_fmac_f32_e32 v178, v204, v205
	s_waitcnt vmcnt(45)
	v_mul_f32_e32 v155, v176, v208
	v_mul_f32_e32 v179, v178, v208
	v_fmac_f32_e32 v155, v207, v178
	v_add_f32_e32 v178, v185, v152
	v_fma_f32 v52, v207, v176, -v179
	v_fma_f32 v152, v174, v53, -v173
	v_mul_f32_e32 v154, v177, v155
	v_mul_f32_e32 v155, v178, v155
	v_fma_f32 v154, v178, v52, -v154
	v_fmac_f32_e32 v155, v177, v52
	s_cbranch_vccnz .LBB0_18
; %bb.17:
	v_mad_u64_u32 v[52:53], null, s12, v160, 0
	v_mad_u64_u32 v[173:174], null, s8, v158, 0
	;; [unrolled: 1-line block ×3, first 2 shown]
	s_lshl_b64 s[4:5], s[2:3], 3
	v_mad_u64_u32 v[185:186], null, s8, v168, 0
	s_waitcnt vmcnt(6)
	v_mad_u64_u32 v[177:178], null, s13, v160, v[53:54]
	v_mad_u64_u32 v[178:179], null, s8, v162, 0
	v_mad_u64_u32 v[180:181], null, s9, v158, v[174:175]
	s_add_u32 s1, s14, s4
	s_addc_u32 s4, s15, s5
	v_mov_b32_e32 v53, v177
	v_mad_u64_u32 v[181:182], null, s8, v164, 0
	v_mov_b32_e32 v177, v179
	v_mov_b32_e32 v174, v180
	v_lshlrev_b64 v[52:53], 3, v[52:53]
	s_and_b32 s16, s0, exec_lo
	v_mad_u64_u32 v[179:180], null, s9, v161, v[176:177]
	v_lshlrev_b64 v[173:174], 3, v[173:174]
	v_add_co_u32 v52, vcc_lo, s1, v52
	v_add_co_ci_u32_e32 v53, vcc_lo, s4, v53, vcc_lo
	v_mad_u64_u32 v[183:184], null, s9, v162, v[177:178]
	v_mov_b32_e32 v176, v179
	v_add_co_u32 v173, vcc_lo, v52, v173
	v_add_co_ci_u32_e32 v174, vcc_lo, v53, v174, vcc_lo
	v_lshlrev_b64 v[175:176], 3, v[175:176]
	v_mov_b32_e32 v179, v183
	global_store_dwordx2 v[173:174], v[132:133], off
	v_mov_b32_e32 v173, v182
	v_add_co_u32 v174, vcc_lo, v52, v175
	v_add_co_ci_u32_e32 v175, vcc_lo, v53, v176, vcc_lo
	v_lshlrev_b64 v[176:177], 3, v[178:179]
	v_mad_u64_u32 v[178:179], null, s9, v164, v[173:174]
	global_store_dwordx2 v[174:175], v[136:137], off
	v_mad_u64_u32 v[173:174], null, s8, v163, 0
	v_add_co_u32 v175, vcc_lo, v52, v176
	v_add_co_ci_u32_e32 v176, vcc_lo, v53, v177, vcc_lo
	v_mov_b32_e32 v182, v178
	v_mad_u64_u32 v[177:178], null, s8, v165, 0
	global_store_dwordx2 v[175:176], v[134:135], off
	v_lshlrev_b64 v[175:176], 3, v[181:182]
	v_mad_u64_u32 v[179:180], null, s9, v163, v[174:175]
	v_mov_b32_e32 v174, v178
	v_add_co_u32 v175, vcc_lo, v52, v175
	v_mad_u64_u32 v[180:181], null, s8, v166, 0
	v_add_co_ci_u32_e32 v176, vcc_lo, v53, v176, vcc_lo
	v_mad_u64_u32 v[182:183], null, s9, v165, v[174:175]
	v_mad_u64_u32 v[183:184], null, s8, v167, 0
	global_store_dwordx2 v[175:176], v[138:139], off
	v_mov_b32_e32 v175, v181
	v_mov_b32_e32 v174, v179
                                        ; kill: def $vgpr176 killed $sgpr0 killed $exec
	v_mov_b32_e32 v178, v182
	v_mad_u64_u32 v[175:176], null, s9, v166, v[175:176]
	v_lshlrev_b64 v[173:174], 3, v[173:174]
	v_lshlrev_b64 v[177:178], 3, v[177:178]
	v_mov_b32_e32 v176, v184
	v_add_co_u32 v173, vcc_lo, v52, v173
	v_mov_b32_e32 v181, v175
	v_mad_u64_u32 v[175:176], null, s9, v167, v[176:177]
	v_add_co_ci_u32_e32 v174, vcc_lo, v53, v174, vcc_lo
	v_mov_b32_e32 v176, v186
	v_add_co_u32 v177, vcc_lo, v52, v177
	v_add_co_ci_u32_e32 v178, vcc_lo, v53, v178, vcc_lo
	v_mov_b32_e32 v184, v175
	v_mad_u64_u32 v[175:176], null, s9, v168, v[176:177]
	global_store_dwordx2 v[173:174], v[140:141], off
	v_lshlrev_b64 v[173:174], 3, v[180:181]
	global_store_dwordx2 v[177:178], v[142:143], off
	v_lshlrev_b64 v[176:177], 3, v[183:184]
	v_mad_u64_u32 v[179:180], null, s8, v169, 0
	v_mov_b32_e32 v186, v175
	v_add_co_u32 v173, vcc_lo, v52, v173
	v_add_co_ci_u32_e32 v174, vcc_lo, v53, v174, vcc_lo
	v_add_co_u32 v175, vcc_lo, v52, v176
	v_add_co_ci_u32_e32 v176, vcc_lo, v53, v177, vcc_lo
	v_lshlrev_b64 v[177:178], 3, v[185:186]
	global_store_dwordx2 v[173:174], v[150:151], off
	v_mad_u64_u32 v[173:174], null, s8, v171, 0
	global_store_dwordx2 v[175:176], v[148:149], off
	v_mad_u64_u32 v[183:184], null, s8, v172, 0
	v_add_co_u32 v175, vcc_lo, v52, v177
	v_mov_b32_e32 v177, v180
	v_add_co_ci_u32_e32 v176, vcc_lo, v53, v178, vcc_lo
	v_mad_u64_u32 v[180:181], null, s9, v171, v[174:175]
	v_mad_u64_u32 v[181:182], null, s8, v170, 0
	;; [unrolled: 1-line block ×3, first 2 shown]
	global_store_dwordx2 v[175:176], v[146:147], off
	v_mov_b32_e32 v176, v184
	v_mov_b32_e32 v174, v180
	;; [unrolled: 1-line block ×4, first 2 shown]
	v_lshlrev_b64 v[173:174], 3, v[173:174]
	v_mad_u64_u32 v[177:178], null, s9, v170, v[175:176]
	v_lshlrev_b64 v[178:179], 3, v[179:180]
	v_add_co_u32 v173, vcc_lo, v52, v173
	v_add_co_ci_u32_e32 v174, vcc_lo, v53, v174, vcc_lo
	v_mad_u64_u32 v[175:176], null, s9, v172, v[176:177]
	v_mov_b32_e32 v182, v177
	v_add_co_u32 v176, vcc_lo, v52, v178
	v_add_co_ci_u32_e32 v177, vcc_lo, v53, v179, vcc_lo
	global_store_dwordx2 v[173:174], v[144:145], off
	v_mov_b32_e32 v184, v175
	v_lshlrev_b64 v[173:174], 3, v[181:182]
	global_store_dwordx2 v[176:177], v[156:157], off
	v_lshlrev_b64 v[175:176], 3, v[183:184]
	v_add_co_u32 v173, vcc_lo, v52, v173
	v_add_co_ci_u32_e32 v174, vcc_lo, v53, v174, vcc_lo
	v_add_co_u32 v175, vcc_lo, v52, v175
	v_add_co_ci_u32_e32 v176, vcc_lo, v53, v176, vcc_lo
	global_store_dwordx2 v[173:174], v[152:153], off
	global_store_dwordx2 v[175:176], v[154:155], off
	s_cbranch_execz .LBB0_19
	s_branch .LBB0_22
.LBB0_18:
                                        ; implicit-def: $vgpr52_vgpr53
.LBB0_19:
	s_mov_b32 s1, exec_lo
                                        ; implicit-def: $vgpr52_vgpr53
	v_cmpx_gt_u64_e64 s[10:11], v[24:25]
	s_cbranch_execz .LBB0_21
; %bb.20:
	v_mad_u64_u32 v[24:25], null, s12, v160, 0
	v_mad_u64_u32 v[52:53], null, s8, v158, 0
	;; [unrolled: 1-line block ×3, first 2 shown]
	s_lshl_b64 s[2:3], s[2:3], 3
	s_add_u32 s2, s14, s2
	v_mad_u64_u32 v[175:176], null, s13, v160, v[25:26]
	s_waitcnt vmcnt(6)
	v_mad_u64_u32 v[178:179], null, s9, v158, v[53:54]
	v_mad_u64_u32 v[176:177], null, s8, v162, 0
	v_mov_b32_e32 v160, v174
	s_addc_u32 s3, s15, s3
	v_mov_b32_e32 v25, v175
	v_mad_u64_u32 v[179:180], null, s8, v164, 0
	v_mov_b32_e32 v53, v178
	v_mad_u64_u32 v[160:161], null, s9, v161, v[160:161]
	v_lshlrev_b64 v[24:25], 3, v[24:25]
	v_mov_b32_e32 v174, v177
	v_lshlrev_b64 v[177:178], 3, v[52:53]
	v_mad_u64_u32 v[161:162], null, s9, v162, v[174:175]
	v_add_co_u32 v52, vcc_lo, s2, v24
	v_add_co_ci_u32_e32 v53, vcc_lo, s3, v25, vcc_lo
	v_mov_b32_e32 v174, v160
	v_add_co_u32 v24, vcc_lo, v52, v177
	v_add_co_ci_u32_e32 v25, vcc_lo, v53, v178, vcc_lo
	v_lshlrev_b64 v[173:174], 3, v[173:174]
	v_mov_b32_e32 v177, v161
	s_andn2_b32 s2, s16, exec_lo
	global_store_dwordx2 v[24:25], v[132:133], off
	v_mov_b32_e32 v24, v180
                                        ; kill: def $vgpr25 killed $sgpr0 killed $exec
	s_and_b32 s0, s0, exec_lo
	v_add_co_u32 v132, vcc_lo, v52, v173
	v_lshlrev_b64 v[160:161], 3, v[176:177]
	v_mad_u64_u32 v[24:25], null, s9, v164, v[24:25]
	v_add_co_ci_u32_e32 v133, vcc_lo, v53, v174, vcc_lo
	s_or_b32 s16, s2, s0
	global_store_dwordx2 v[132:133], v[136:137], off
	v_add_co_u32 v136, vcc_lo, v52, v160
	v_add_co_ci_u32_e32 v137, vcc_lo, v53, v161, vcc_lo
	v_mov_b32_e32 v180, v24
	v_mad_u64_u32 v[132:133], null, s8, v163, 0
	global_store_dwordx2 v[136:137], v[134:135], off
	v_mad_u64_u32 v[24:25], null, s8, v165, 0
	v_lshlrev_b64 v[134:135], 3, v[179:180]
	v_mad_u64_u32 v[160:161], null, s8, v166, 0
	v_mad_u64_u32 v[136:137], null, s9, v163, v[133:134]
	v_add_co_u32 v134, vcc_lo, v52, v134
	v_add_co_ci_u32_e32 v135, vcc_lo, v53, v135, vcc_lo
	v_mad_u64_u32 v[162:163], null, s9, v165, v[25:26]
	v_mov_b32_e32 v133, v136
	v_mad_u64_u32 v[136:137], null, s8, v167, 0
	global_store_dwordx2 v[134:135], v[138:139], off
	v_mov_b32_e32 v134, v161
	v_lshlrev_b64 v[132:133], 3, v[132:133]
	v_mov_b32_e32 v25, v162
	v_mad_u64_u32 v[138:139], null, s8, v168, 0
	v_mad_u64_u32 v[134:135], null, s9, v166, v[134:135]
	v_mov_b32_e32 v135, v137
	v_add_co_u32 v132, vcc_lo, v52, v132
	v_add_co_ci_u32_e32 v133, vcc_lo, v53, v133, vcc_lo
	v_lshlrev_b64 v[24:25], 3, v[24:25]
	v_mov_b32_e32 v161, v134
	v_mad_u64_u32 v[134:135], null, s9, v167, v[135:136]
	global_store_dwordx2 v[132:133], v[140:141], off
	v_mov_b32_e32 v135, v139
	v_lshlrev_b64 v[132:133], 3, v[160:161]
	v_add_co_u32 v24, vcc_lo, v52, v24
	v_add_co_ci_u32_e32 v25, vcc_lo, v53, v25, vcc_lo
	v_mov_b32_e32 v137, v134
	v_add_co_u32 v132, vcc_lo, v52, v132
	v_add_co_ci_u32_e32 v133, vcc_lo, v53, v133, vcc_lo
	global_store_dwordx2 v[24:25], v[142:143], off
	v_lshlrev_b64 v[24:25], 3, v[136:137]
	v_mad_u64_u32 v[134:135], null, s9, v168, v[135:136]
	global_store_dwordx2 v[132:133], v[150:151], off
	v_mad_u64_u32 v[132:133], null, s8, v171, 0
	v_mad_u64_u32 v[136:137], null, s8, v169, 0
	v_add_co_u32 v24, vcc_lo, v52, v24
	v_add_co_ci_u32_e32 v25, vcc_lo, v53, v25, vcc_lo
	v_mov_b32_e32 v139, v134
	v_mad_u64_u32 v[140:141], null, s8, v172, 0
	global_store_dwordx2 v[24:25], v[148:149], off
	v_mov_b32_e32 v24, v133
	v_mov_b32_e32 v25, v137
	v_lshlrev_b64 v[134:135], 3, v[138:139]
	v_mad_u64_u32 v[137:138], null, s9, v171, v[24:25]
	v_mad_u64_u32 v[138:139], null, s8, v170, 0
	;; [unrolled: 1-line block ×3, first 2 shown]
	v_add_co_u32 v134, vcc_lo, v52, v134
	v_add_co_ci_u32_e32 v135, vcc_lo, v53, v135, vcc_lo
	v_mov_b32_e32 v25, v139
	v_mov_b32_e32 v133, v137
	;; [unrolled: 1-line block ×4, first 2 shown]
	global_store_dwordx2 v[134:135], v[146:147], off
	v_mad_u64_u32 v[134:135], null, s9, v170, v[25:26]
	v_lshlrev_b64 v[132:133], 3, v[132:133]
	v_mad_u64_u32 v[24:25], null, s9, v172, v[24:25]
	v_lshlrev_b64 v[135:136], 3, v[136:137]
	v_mov_b32_e32 v139, v134
	v_add_co_u32 v132, vcc_lo, v52, v132
	v_add_co_ci_u32_e32 v133, vcc_lo, v53, v133, vcc_lo
	v_mov_b32_e32 v141, v24
	v_lshlrev_b64 v[24:25], 3, v[138:139]
	v_add_co_u32 v134, vcc_lo, v52, v135
	global_store_dwordx2 v[132:133], v[144:145], off
	v_lshlrev_b64 v[132:133], 3, v[140:141]
	v_add_co_ci_u32_e32 v135, vcc_lo, v53, v136, vcc_lo
	v_add_co_u32 v24, vcc_lo, v52, v24
	v_add_co_ci_u32_e32 v25, vcc_lo, v53, v25, vcc_lo
	v_add_co_u32 v132, vcc_lo, v52, v132
	v_add_co_ci_u32_e32 v133, vcc_lo, v53, v133, vcc_lo
	global_store_dwordx2 v[134:135], v[156:157], off
	global_store_dwordx2 v[24:25], v[152:153], off
	;; [unrolled: 1-line block ×3, first 2 shown]
.LBB0_21:
	s_or_b32 exec_lo, exec_lo, s1
.LBB0_22:
	s_and_saveexec_b32 s0, s16
	s_cbranch_execnz .LBB0_24
; %bb.23:
	s_endpgm
.LBB0_24:
	s_waitcnt vmcnt(2)
	v_mul_f32_e32 v24, v35, v21
	v_mul_f32_e32 v21, v34, v21
	;; [unrolled: 1-line block ×5, first 2 shown]
	v_fma_f32 v24, v34, v20, -v24
	v_fmac_f32_e32 v21, v35, v20
	v_fma_f32 v20, v30, v22, -v25
	v_fmac_f32_e32 v23, v31, v22
	v_mul_f32_e32 v22, v46, v17
	v_fma_f32 v25, v46, v16, -v132
	v_mul_f32_e32 v17, v49, v19
	v_mul_f32_e32 v19, v48, v19
	;; [unrolled: 1-line block ×3, first 2 shown]
	v_fmac_f32_e32 v22, v47, v16
	v_mul_f32_e32 v16, v50, v13
	v_fma_f32 v31, v48, v18, -v17
	v_fmac_f32_e32 v19, v49, v18
	v_fma_f32 v17, v50, v12, -v30
	v_mul_f32_e32 v13, v41, v15
	v_fmac_f32_e32 v16, v51, v12
	v_mul_f32_e32 v12, v40, v15
	v_add_f32_e32 v15, v26, v24
	v_add_f32_e32 v18, v27, v21
	v_mul_f32_e32 v30, v45, v9
	v_mul_f32_e32 v9, v44, v9
	v_fma_f32 v13, v40, v14, -v13
	v_add_f32_e32 v15, v15, v20
	v_add_f32_e32 v18, v18, v23
	v_fmac_f32_e32 v12, v41, v14
	v_fma_f32 v14, v44, v8, -v30
	v_mul_f32_e32 v30, v43, v11
	v_add_f32_e32 v15, v15, v25
	v_add_f32_e32 v18, v18, v22
	v_fmac_f32_e32 v9, v45, v8
	v_mul_f32_e32 v8, v42, v11
	v_fma_f32 v11, v42, v10, -v30
	v_add_f32_e32 v15, v15, v31
	v_add_f32_e32 v18, v18, v19
	s_waitcnt vmcnt(0)
	v_mul_f32_e32 v30, v39, v5
	v_fmac_f32_e32 v8, v43, v10
	v_mul_f32_e32 v5, v38, v5
	v_add_f32_e32 v10, v15, v17
	v_add_f32_e32 v15, v18, v16
	v_fma_f32 v18, v38, v4, -v30
	v_mul_f32_e32 v30, v37, v7
	v_fmac_f32_e32 v5, v39, v4
	v_add_f32_e32 v4, v10, v13
	v_add_f32_e32 v10, v15, v12
	v_mul_f32_e32 v7, v36, v7
	v_fma_f32 v15, v36, v6, -v30
	v_mul_f32_e32 v30, v29, v1
	v_add_f32_e32 v4, v4, v14
	v_add_f32_e32 v10, v10, v9
	v_fmac_f32_e32 v7, v37, v6
	v_mul_f32_e32 v6, v32, v3
	v_mul_f32_e32 v3, v33, v3
	v_add_f32_e32 v4, v4, v11
	v_add_f32_e32 v10, v10, v8
	v_fma_f32 v30, v28, v0, -v30
	v_fmac_f32_e32 v6, v33, v2
	v_mul_f32_e32 v28, v28, v1
	v_add_f32_e32 v1, v4, v18
	v_add_f32_e32 v4, v10, v5
	v_fma_f32 v2, v32, v2, -v3
	v_sub_f32_e32 v3, v21, v6
	v_fmac_f32_e32 v28, v29, v0
	v_add_f32_e32 v0, v1, v15
	v_add_f32_e32 v1, v4, v7
	;; [unrolled: 1-line block ×3, first 2 shown]
	v_mul_f32_e32 v10, 0xbeedf032, v3
	v_sub_f32_e32 v24, v24, v2
	v_add_f32_e32 v0, v0, v30
	v_add_f32_e32 v29, v1, v28
	;; [unrolled: 1-line block ×3, first 2 shown]
	v_fma_f32 v32, 0x3f62ad3f, v4, -v10
	v_mul_f32_e32 v33, 0xbeedf032, v24
	v_sub_f32_e32 v49, v23, v28
	v_add_f32_e32 v1, v0, v2
	v_add_f32_e32 v0, v29, v6
	;; [unrolled: 1-line block ×3, first 2 shown]
	v_mul_f32_e32 v6, 0xbf52af12, v3
	v_fmamk_f32 v29, v21, 0x3f62ad3f, v33
	v_fma_f32 v32, 0x3f62ad3f, v21, -v33
	v_mul_f32_e32 v33, 0xbf52af12, v24
	v_mul_f32_e32 v36, 0xbf7e222b, v3
	;; [unrolled: 1-line block ×9, first 2 shown]
	v_add_f32_e32 v51, v20, v30
	v_mul_f32_e32 v132, 0xbf52af12, v49
	v_sub_f32_e32 v20, v20, v30
	v_fmac_f32_e32 v10, 0x3f62ad3f, v4
	v_fma_f32 v34, 0x3f116cb1, v4, -v6
	v_fmamk_f32 v35, v21, 0x3f116cb1, v33
	v_fmac_f32_e32 v6, 0x3f116cb1, v4
	v_fma_f32 v33, 0x3f116cb1, v21, -v33
	v_fma_f32 v38, 0x3df6dbef, v4, -v36
	v_fmamk_f32 v40, v21, 0x3df6dbef, v37
	v_fmac_f32_e32 v36, 0x3df6dbef, v4
	v_fma_f32 v37, 0x3df6dbef, v21, -v37
	;; [unrolled: 4-line block ×5, first 2 shown]
	v_fma_f32 v21, 0x3f116cb1, v51, -v132
	v_add_f32_e32 v23, v23, v28
	v_mul_f32_e32 v24, 0xbf52af12, v20
	v_add_f32_e32 v29, v27, v29
	v_add_f32_e32 v10, v26, v10
	;; [unrolled: 1-line block ×24, first 2 shown]
	v_mul_f32_e32 v21, 0xbf6f5d39, v49
	v_fmamk_f32 v26, v23, 0x3f116cb1, v24
	v_mul_f32_e32 v27, 0xbf6f5d39, v20
	v_fma_f32 v24, 0x3f116cb1, v23, -v24
	v_mul_f32_e32 v30, 0xbe750f2a, v49
	v_fma_f32 v28, 0xbeb58ec6, v51, -v21
	v_add_f32_e32 v26, v26, v29
	v_fmamk_f32 v29, v23, 0xbeb58ec6, v27
	v_fmac_f32_e32 v21, 0xbeb58ec6, v51
	v_fma_f32 v27, 0xbeb58ec6, v23, -v27
	v_add_f32_e32 v24, v24, v32
	v_add_f32_e32 v28, v28, v34
	v_mul_f32_e32 v32, 0xbe750f2a, v20
	v_fma_f32 v34, 0xbf788fa5, v51, -v30
	v_add_f32_e32 v6, v21, v6
	v_add_f32_e32 v21, v27, v33
	v_mul_f32_e32 v27, 0x3f29c268, v49
	v_fmac_f32_e32 v30, 0xbf788fa5, v51
	v_add_f32_e32 v29, v29, v35
	v_fmamk_f32 v33, v23, 0xbf788fa5, v32
	v_add_f32_e32 v34, v34, v38
	v_fma_f32 v35, 0xbf3f9e67, v51, -v27
	v_add_f32_e32 v30, v30, v36
	v_mul_f32_e32 v36, 0x3f7e222b, v49
	v_add_f32_e32 v33, v33, v40
	v_fmac_f32_e32 v27, 0xbf3f9e67, v51
	v_add_f32_e32 v35, v35, v41
	v_mul_f32_e32 v40, 0x3f7e222b, v20
	v_fma_f32 v41, 0x3df6dbef, v51, -v36
	v_fmac_f32_e32 v36, 0x3df6dbef, v51
	v_fma_f32 v32, 0xbf788fa5, v23, -v32
	v_mul_f32_e32 v38, 0x3f29c268, v20
	v_add_f32_e32 v27, v27, v39
	v_fmamk_f32 v39, v23, 0x3df6dbef, v40
	v_fma_f32 v40, 0x3df6dbef, v23, -v40
	v_add_f32_e32 v36, v36, v43
	v_sub_f32_e32 v43, v22, v7
	v_add_f32_e32 v32, v32, v37
	v_fmamk_f32 v37, v23, 0xbf3f9e67, v38
	v_fma_f32 v38, 0xbf3f9e67, v23, -v38
	v_add_f32_e32 v39, v39, v47
	v_mul_f32_e32 v20, 0x3eedf032, v20
	v_add_f32_e32 v40, v40, v45
	v_add_f32_e32 v45, v25, v15
	v_mul_f32_e32 v47, 0xbf7e222b, v43
	v_sub_f32_e32 v15, v25, v15
	v_add_f32_e32 v38, v38, v42
	v_add_f32_e32 v41, v41, v46
	v_mul_f32_e32 v42, 0x3eedf032, v49
	v_fmamk_f32 v46, v23, 0x3f62ad3f, v20
	v_fma_f32 v20, 0x3f62ad3f, v23, -v20
	v_fma_f32 v23, 0x3df6dbef, v45, -v47
	v_add_f32_e32 v7, v22, v7
	v_mul_f32_e32 v22, 0xbf7e222b, v15
	v_add_f32_e32 v37, v37, v44
	v_fma_f32 v44, 0x3f62ad3f, v51, -v42
	v_fmac_f32_e32 v42, 0x3f62ad3f, v51
	v_add_f32_e32 v4, v20, v4
	v_add_f32_e32 v2, v23, v2
	v_mul_f32_e32 v20, 0xbe750f2a, v43
	v_fmamk_f32 v23, v7, 0x3df6dbef, v22
	v_fma_f32 v22, 0x3df6dbef, v7, -v22
	v_mul_f32_e32 v25, 0xbe750f2a, v15
	v_add_f32_e32 v3, v42, v3
	v_fma_f32 v42, 0xbf788fa5, v45, -v20
	v_add_f32_e32 v23, v23, v26
	v_add_f32_e32 v22, v22, v24
	v_fmamk_f32 v24, v7, 0xbf788fa5, v25
	v_fmac_f32_e32 v20, 0xbf788fa5, v45
	v_add_f32_e32 v26, v42, v28
	v_mul_f32_e32 v28, 0x3f6f5d39, v43
	v_fma_f32 v25, 0xbf788fa5, v7, -v25
	v_add_f32_e32 v24, v24, v29
	v_mul_f32_e32 v29, 0x3f6f5d39, v15
	v_add_f32_e32 v6, v20, v6
	v_fma_f32 v42, 0xbeb58ec6, v45, -v28
	v_add_f32_e32 v20, v25, v21
	v_mul_f32_e32 v21, 0x3eedf032, v43
	v_fmamk_f32 v25, v7, 0xbeb58ec6, v29
	v_fmac_f32_e32 v132, 0x3f116cb1, v51
	v_add_f32_e32 v34, v42, v34
	v_fmac_f32_e32 v28, 0xbeb58ec6, v45
	v_fma_f32 v29, 0xbeb58ec6, v7, -v29
	v_fma_f32 v42, 0x3f62ad3f, v45, -v21
	v_add_f32_e32 v25, v25, v33
	v_mul_f32_e32 v33, 0x3eedf032, v15
	v_add_f32_e32 v10, v132, v10
	v_fmac_f32_e32 v47, 0x3df6dbef, v45
	v_add_f32_e32 v28, v28, v30
	v_add_f32_e32 v29, v29, v32
	v_add_f32_e32 v30, v42, v35
	v_mul_f32_e32 v32, 0xbf52af12, v43
	v_fmamk_f32 v35, v7, 0x3f62ad3f, v33
	v_fmac_f32_e32 v21, 0x3f62ad3f, v45
	v_mul_f32_e32 v42, 0xbf52af12, v15
	v_fma_f32 v33, 0x3f62ad3f, v7, -v33
	v_add_f32_e32 v10, v47, v10
	v_fma_f32 v47, 0x3f116cb1, v45, -v32
	v_add_f32_e32 v21, v21, v27
	v_fmamk_f32 v27, v7, 0x3f116cb1, v42
	v_add_f32_e32 v33, v33, v38
	v_mul_f32_e32 v38, 0xbf29c268, v43
	v_fmac_f32_e32 v32, 0x3f116cb1, v45
	v_add_f32_e32 v44, v44, v48
	v_add_f32_e32 v35, v35, v37
	;; [unrolled: 1-line block ×4, first 2 shown]
	v_mul_f32_e32 v15, 0xbf29c268, v15
	v_fma_f32 v39, 0x3f116cb1, v7, -v42
	v_fma_f32 v41, 0xbf3f9e67, v45, -v38
	v_add_f32_e32 v32, v32, v36
	v_sub_f32_e32 v36, v19, v5
	v_fmamk_f32 v42, v7, 0xbf3f9e67, v15
	v_add_f32_e32 v39, v39, v40
	v_add_f32_e32 v40, v41, v44
	v_add_f32_e32 v41, v31, v18
	v_mul_f32_e32 v43, 0xbf6f5d39, v36
	v_sub_f32_e32 v18, v31, v18
	v_fma_f32 v7, 0xbf3f9e67, v7, -v15
	v_fmac_f32_e32 v38, 0xbf3f9e67, v45
	v_add_f32_e32 v5, v19, v5
	v_fma_f32 v15, 0xbeb58ec6, v41, -v43
	v_mul_f32_e32 v19, 0xbf6f5d39, v18
	v_add_f32_e32 v4, v7, v4
	v_mul_f32_e32 v7, 0x3f29c268, v36
	v_add_f32_e32 v3, v38, v3
	v_add_f32_e32 v2, v15, v2
	v_fmamk_f32 v15, v5, 0xbeb58ec6, v19
	v_fma_f32 v19, 0xbeb58ec6, v5, -v19
	v_mul_f32_e32 v31, 0x3f29c268, v18
	v_fma_f32 v38, 0xbf3f9e67, v41, -v7
	v_fmac_f32_e32 v7, 0xbf3f9e67, v41
	v_add_f32_e32 v15, v15, v23
	v_add_f32_e32 v19, v19, v22
	v_fmamk_f32 v22, v5, 0xbf3f9e67, v31
	v_add_f32_e32 v23, v38, v26
	v_mul_f32_e32 v26, 0x3eedf032, v36
	v_fma_f32 v31, 0xbf3f9e67, v5, -v31
	v_add_f32_e32 v6, v7, v6
	v_add_f32_e32 v22, v22, v24
	v_mul_f32_e32 v24, 0x3eedf032, v18
	v_fma_f32 v38, 0x3f62ad3f, v41, -v26
	v_add_f32_e32 v7, v31, v20
	v_mul_f32_e32 v20, 0xbf7e222b, v36
	v_fmac_f32_e32 v26, 0x3f62ad3f, v41
	v_fmamk_f32 v31, v5, 0x3f62ad3f, v24
	v_add_f32_e32 v34, v38, v34
	v_fma_f32 v24, 0x3f62ad3f, v5, -v24
	v_fma_f32 v38, 0x3df6dbef, v41, -v20
	v_fmac_f32_e32 v43, 0xbeb58ec6, v41
	v_add_f32_e32 v26, v26, v28
	v_fmac_f32_e32 v20, 0x3df6dbef, v41
	v_add_f32_e32 v24, v24, v29
	v_add_f32_e32 v28, v38, v30
	v_mul_f32_e32 v29, 0x3e750f2a, v36
	v_mul_f32_e32 v38, 0x3e750f2a, v18
	v_add_f32_e32 v10, v43, v10
	v_add_f32_e32 v20, v20, v21
	;; [unrolled: 1-line block ×3, first 2 shown]
	v_fma_f32 v43, 0xbf788fa5, v41, -v29
	v_fmamk_f32 v21, v5, 0xbf788fa5, v38
	v_fmac_f32_e32 v29, 0xbf788fa5, v41
	v_mul_f32_e32 v31, 0xbf7e222b, v18
	v_mul_f32_e32 v18, 0x3f52af12, v18
	v_add_f32_e32 v46, v46, v50
	v_add_f32_e32 v21, v21, v27
	v_fma_f32 v27, 0xbf788fa5, v5, -v38
	v_add_f32_e32 v29, v29, v32
	v_sub_f32_e32 v32, v16, v8
	v_fmamk_f32 v30, v5, 0x3df6dbef, v31
	v_fma_f32 v31, 0x3df6dbef, v5, -v31
	v_add_f32_e32 v27, v27, v39
	v_add_f32_e32 v38, v17, v11
	v_mul_f32_e32 v39, 0xbf29c268, v32
	v_sub_f32_e32 v11, v17, v11
	v_add_f32_e32 v30, v30, v35
	v_add_f32_e32 v31, v31, v33
	;; [unrolled: 1-line block ×3, first 2 shown]
	v_mul_f32_e32 v35, 0x3f52af12, v36
	v_fmamk_f32 v37, v5, 0x3f116cb1, v18
	v_fma_f32 v5, 0x3f116cb1, v5, -v18
	v_fma_f32 v17, 0xbf3f9e67, v38, -v39
	v_add_f32_e32 v8, v16, v8
	v_mul_f32_e32 v16, 0xbf29c268, v11
	v_fma_f32 v36, 0x3f116cb1, v41, -v35
	v_fmac_f32_e32 v35, 0x3f116cb1, v41
	v_add_f32_e32 v4, v5, v4
	v_add_f32_e32 v2, v17, v2
	v_mul_f32_e32 v5, 0x3f7e222b, v32
	v_fmamk_f32 v17, v8, 0xbf3f9e67, v16
	v_mul_f32_e32 v18, 0x3f7e222b, v11
	v_add_f32_e32 v3, v35, v3
	v_fma_f32 v16, 0xbf3f9e67, v8, -v16
	v_fma_f32 v35, 0x3df6dbef, v38, -v5
	v_add_f32_e32 v15, v17, v15
	v_fmamk_f32 v17, v8, 0x3df6dbef, v18
	v_fmac_f32_e32 v5, 0x3df6dbef, v38
	v_add_f32_e32 v16, v16, v19
	v_add_f32_e32 v19, v35, v23
	v_mul_f32_e32 v23, 0xbf52af12, v32
	v_fma_f32 v18, 0x3df6dbef, v8, -v18
	v_add_f32_e32 v17, v17, v22
	v_mul_f32_e32 v22, 0xbf52af12, v11
	v_add_f32_e32 v5, v5, v6
	v_fma_f32 v35, 0x3f116cb1, v38, -v23
	v_add_f32_e32 v6, v18, v7
	v_mul_f32_e32 v7, 0x3e750f2a, v32
	v_fmamk_f32 v18, v8, 0x3f116cb1, v22
	v_fmac_f32_e32 v23, 0x3f116cb1, v38
	v_add_f32_e32 v34, v35, v34
	v_fma_f32 v22, 0x3f116cb1, v8, -v22
	v_fma_f32 v35, 0xbf788fa5, v38, -v7
	v_add_f32_e32 v18, v18, v25
	v_mul_f32_e32 v25, 0x3e750f2a, v11
	v_fmac_f32_e32 v39, 0xbf3f9e67, v38
	v_add_f32_e32 v23, v23, v26
	v_add_f32_e32 v22, v22, v24
	;; [unrolled: 1-line block ×3, first 2 shown]
	v_mul_f32_e32 v26, 0x3eedf032, v32
	v_fmamk_f32 v28, v8, 0xbf788fa5, v25
	v_fmac_f32_e32 v7, 0xbf788fa5, v38
	v_mul_f32_e32 v35, 0x3eedf032, v11
	v_fma_f32 v25, 0xbf788fa5, v8, -v25
	v_add_f32_e32 v10, v39, v10
	v_fma_f32 v39, 0x3f62ad3f, v38, -v26
	v_add_f32_e32 v7, v7, v20
	v_fmamk_f32 v20, v8, 0x3f62ad3f, v35
	v_add_f32_e32 v25, v25, v31
	v_mul_f32_e32 v31, 0xbf6f5d39, v32
	v_fmac_f32_e32 v26, 0x3f62ad3f, v38
	v_add_f32_e32 v36, v36, v40
	v_add_f32_e32 v20, v20, v21
	v_fma_f32 v21, 0x3f62ad3f, v8, -v35
	v_fma_f32 v32, 0xbeb58ec6, v38, -v31
	v_add_f32_e32 v26, v26, v29
	v_sub_f32_e32 v29, v12, v9
	v_mul_f32_e32 v11, 0xbf6f5d39, v11
	v_add_f32_e32 v21, v21, v27
	v_add_f32_e32 v27, v32, v36
	v_add_f32_e32 v32, v13, v14
	v_mul_f32_e32 v35, 0xbe750f2a, v29
	v_sub_f32_e32 v13, v13, v14
	v_add_f32_e32 v28, v28, v30
	v_add_f32_e32 v30, v39, v33
	v_fmamk_f32 v33, v8, 0xbeb58ec6, v11
	v_fma_f32 v8, 0xbeb58ec6, v8, -v11
	v_fma_f32 v11, 0xbf788fa5, v32, -v35
	v_add_f32_e32 v9, v12, v9
	v_mul_f32_e32 v12, 0xbe750f2a, v13
	v_add_f32_e32 v42, v42, v46
	v_fmac_f32_e32 v31, 0xbeb58ec6, v38
	v_add_f32_e32 v4, v8, v4
	v_add_f32_e32 v8, v11, v2
	v_mul_f32_e32 v2, 0x3eedf032, v29
	v_fmamk_f32 v11, v9, 0xbf788fa5, v12
	v_fmac_f32_e32 v35, 0xbf788fa5, v32
	v_fma_f32 v12, 0xbf788fa5, v9, -v12
	v_mul_f32_e32 v14, 0x3eedf032, v13
	v_add_f32_e32 v37, v37, v42
	v_add_f32_e32 v3, v31, v3
	v_fma_f32 v31, 0x3f62ad3f, v32, -v2
	v_add_f32_e32 v11, v11, v15
	v_add_f32_e32 v35, v35, v10
	;; [unrolled: 1-line block ×3, first 2 shown]
	v_fmamk_f32 v10, v9, 0x3f62ad3f, v14
	v_mul_f32_e32 v15, 0xbf29c268, v29
	v_fmac_f32_e32 v2, 0x3f62ad3f, v32
	v_mul_f32_e32 v16, 0xbf29c268, v13
	v_add_f32_e32 v33, v33, v37
	v_fma_f32 v14, 0x3f62ad3f, v9, -v14
	v_add_f32_e32 v10, v10, v17
	v_fma_f32 v17, 0xbf3f9e67, v32, -v15
	v_add_f32_e32 v37, v2, v5
	v_mul_f32_e32 v2, 0x3f52af12, v29
	v_fmamk_f32 v5, v9, 0xbf3f9e67, v16
	v_add_f32_e32 v38, v14, v6
	v_add_f32_e32 v14, v17, v34
	v_fmac_f32_e32 v15, 0xbf3f9e67, v32
	v_fma_f32 v6, 0xbf3f9e67, v9, -v16
	v_fma_f32 v16, 0x3f116cb1, v32, -v2
	v_add_f32_e32 v17, v5, v18
	v_mul_f32_e32 v5, 0x3f52af12, v13
	v_add_f32_e32 v12, v31, v19
	v_add_f32_e32 v23, v15, v23
	;; [unrolled: 1-line block ×4, first 2 shown]
	v_mul_f32_e32 v6, 0xbf6f5d39, v29
	v_fmamk_f32 v16, v9, 0x3f116cb1, v5
	v_fmac_f32_e32 v2, 0x3f116cb1, v32
	v_fma_f32 v5, 0x3f116cb1, v9, -v5
	v_mul_f32_e32 v18, 0xbf6f5d39, v13
	v_fma_f32 v19, 0xbeb58ec6, v32, -v6
	v_fmac_f32_e32 v6, 0xbeb58ec6, v32
	v_add_f32_e32 v22, v2, v7
	v_add_f32_e32 v24, v5, v25
	v_fmamk_f32 v2, v9, 0xbeb58ec6, v18
	v_mul_f32_e32 v5, 0x3f7e222b, v29
	v_fma_f32 v7, 0xbeb58ec6, v9, -v18
	v_add_f32_e32 v16, v16, v28
	v_add_f32_e32 v19, v19, v30
	;; [unrolled: 1-line block ×4, first 2 shown]
	v_fma_f32 v6, 0x3df6dbef, v32, -v5
	v_mul_f32_e32 v2, 0x3f7e222b, v13
	v_add_f32_e32 v21, v7, v21
	v_mul_f32_e32 v7, v63, v131
	v_fmac_f32_e32 v5, 0x3df6dbef, v32
	v_add_f32_e32 v25, v6, v27
	v_mul_f32_e32 v6, v62, v131
	v_fmamk_f32 v13, v9, 0x3df6dbef, v2
	v_fma_f32 v7, v62, v130, -v7
	v_add_f32_e32 v27, v5, v3
	v_mul_f32_e32 v3, v127, v129
	v_fmac_f32_e32 v6, v63, v130
	v_add_f32_e32 v26, v13, v33
	v_mul_f32_e32 v5, v7, v125
	v_fma_f32 v2, 0x3df6dbef, v9, -v2
	v_mul_f32_e32 v9, v126, v129
	v_fma_f32 v3, v126, v128, -v3
	v_mul_f32_e32 v13, v6, v125
	v_fmac_f32_e32 v5, v124, v6
	v_add_f32_e32 v28, v2, v4
	v_fmac_f32_e32 v9, v127, v128
	v_mul_f32_e32 v4, v3, v123
	v_fma_f32 v6, v124, v7, -v13
	v_mul_f32_e32 v13, v119, v121
	v_mul_f32_e32 v7, v0, v5
	;; [unrolled: 1-line block ×3, first 2 shown]
	v_fmac_f32_e32 v4, v122, v9
	v_mul_f32_e32 v2, v1, v5
	v_mul_f32_e32 v5, v118, v121
	v_fma_f32 v9, v118, v120, -v13
	v_fma_f32 v13, v122, v3, -v29
	v_mul_f32_e32 v3, v11, v4
	v_fma_f32 v1, v1, v6, -v7
	v_fmac_f32_e32 v5, v119, v120
	v_mul_f32_e32 v7, v9, v117
	v_fmac_f32_e32 v2, v0, v6
	v_mul_f32_e32 v0, v113, v115
	v_fma_f32 v3, v8, v13, -v3
	v_mul_f32_e32 v6, v5, v117
	v_fmac_f32_e32 v7, v116, v5
	v_mul_f32_e32 v4, v8, v4
	v_mul_f32_e32 v8, v112, v115
	v_fma_f32 v0, v112, v114, -v0
	v_fma_f32 v9, v116, v9, -v6
	v_mul_f32_e32 v5, v10, v7
	v_fmac_f32_e32 v4, v11, v13
	v_fmac_f32_e32 v8, v113, v114
	v_mul_f32_e32 v11, v0, v111
	v_mul_f32_e32 v6, v12, v7
	;; [unrolled: 1-line block ×3, first 2 shown]
	v_fma_f32 v5, v12, v9, -v5
	v_mul_f32_e32 v12, v8, v111
	v_fmac_f32_e32 v11, v110, v8
	v_fmac_f32_e32 v6, v10, v9
	v_mul_f32_e32 v8, v106, v109
	v_fma_f32 v9, v106, v108, -v7
	v_mul_f32_e32 v10, v103, v105
	v_fma_f32 v0, v110, v0, -v12
	v_mul_f32_e32 v7, v17, v11
	v_fmac_f32_e32 v8, v107, v108
	v_mul_f32_e32 v12, v9, v101
	v_mul_f32_e32 v13, v102, v105
	v_fma_f32 v29, v102, v104, -v10
	v_fma_f32 v7, v14, v0, -v7
	v_mul_f32_e32 v10, v8, v101
	v_fmac_f32_e32 v12, v100, v8
	v_fmac_f32_e32 v13, v103, v104
	v_mul_f32_e32 v8, v14, v11
	v_mul_f32_e32 v14, v29, v99
	v_fma_f32 v11, v100, v9, -v10
	v_mul_f32_e32 v10, v15, v12
	v_mul_f32_e32 v30, v13, v99
	;; [unrolled: 1-line block ×3, first 2 shown]
	v_fmac_f32_e32 v14, v98, v13
	v_fmac_f32_e32 v8, v17, v0
	v_mul_f32_e32 v12, v95, v97
	v_fma_f32 v0, v98, v29, -v30
	v_fmac_f32_e32 v10, v16, v11
	v_mul_f32_e32 v13, v18, v14
	v_mul_f32_e32 v16, v91, v93
	v_fma_f32 v9, v15, v11, -v9
	v_mul_f32_e32 v15, v94, v97
	v_fma_f32 v17, v94, v96, -v12
	v_fma_f32 v11, v19, v0, -v13
	v_mul_f32_e32 v13, v90, v93
	v_fma_f32 v16, v90, v92, -v16
	v_fmac_f32_e32 v15, v95, v96
	v_mul_f32_e32 v29, v17, v89
	v_mul_f32_e32 v12, v19, v14
	v_fmac_f32_e32 v13, v91, v92
	v_mul_f32_e32 v19, v16, v87
	v_mul_f32_e32 v14, v15, v89
	v_fmac_f32_e32 v29, v88, v15
	v_fmac_f32_e32 v12, v18, v0
	v_mul_f32_e32 v0, v13, v87
	v_fmac_f32_e32 v19, v86, v13
	v_fma_f32 v15, v88, v17, -v14
	v_mul_f32_e32 v13, v26, v29
	v_mul_f32_e32 v14, v25, v29
	v_fma_f32 v0, v86, v16, -v0
	v_mul_f32_e32 v16, v83, v85
	v_mul_f32_e32 v17, v28, v19
	;; [unrolled: 1-line block ×3, first 2 shown]
	v_fma_f32 v13, v25, v15, -v13
	v_fmac_f32_e32 v14, v26, v15
	v_fma_f32 v25, v82, v84, -v16
	v_fma_f32 v15, v27, v0, -v17
	v_fmac_f32_e32 v18, v83, v84
	v_mul_f32_e32 v16, v27, v19
	v_mul_f32_e32 v17, v79, v81
	;; [unrolled: 1-line block ×5, first 2 shown]
	v_fmac_f32_e32 v16, v28, v0
	v_fma_f32 v0, v78, v80, -v17
	v_mul_f32_e32 v17, v71, v75
	v_fmac_f32_e32 v19, v76, v18
	v_fmac_f32_e32 v26, v79, v80
	v_fma_f32 v25, v76, v25, -v27
	v_mul_f32_e32 v27, v0, v73
	v_mul_f32_e32 v30, v70, v75
	v_fma_f32 v32, v70, v74, -v17
	v_mul_f32_e32 v29, v26, v73
	v_mul_f32_e32 v18, v20, v19
	v_fmac_f32_e32 v27, v72, v26
	v_fmac_f32_e32 v30, v71, v74
	v_mul_f32_e32 v26, v32, v69
	v_mul_f32_e32 v28, v21, v19
	v_fma_f32 v0, v72, v0, -v29
	v_mul_f32_e32 v19, v24, v27
	v_fmac_f32_e32 v18, v21, v25
	v_mul_f32_e32 v21, v30, v69
	v_fmac_f32_e32 v26, v68, v30
	v_fma_f32 v17, v20, v25, -v28
	v_fma_f32 v19, v22, v0, -v19
	v_mul_f32_e32 v20, v22, v27
	v_mul_f32_e32 v25, v64, v67
	v_fma_f32 v27, v68, v32, -v21
	v_mul_f32_e32 v21, v31, v26
	v_mul_f32_e32 v28, v65, v67
	;; [unrolled: 1-line block ×3, first 2 shown]
	v_fmac_f32_e32 v25, v65, v66
	v_fmac_f32_e32 v20, v24, v0
	v_fma_f32 v21, v23, v27, -v21
	v_fma_f32 v0, v64, v66, -v28
	v_fmac_f32_e32 v22, v31, v27
	v_mul_f32_e32 v27, v59, v61
	v_mad_u64_u32 v[23:24], null, s8, v159, 0
	v_mul_f32_e32 v26, v25, v57
	v_mul_f32_e32 v28, v58, v61
	;; [unrolled: 1-line block ×3, first 2 shown]
	v_fma_f32 v30, v58, v60, -v27
	v_add_nc_u32_e32 v31, 29, v158
	v_fma_f32 v33, v56, v0, -v26
	v_fmac_f32_e32 v28, v59, v60
	v_fmac_f32_e32 v29, v56, v25
	v_mul_f32_e32 v32, v30, v55
	v_mov_b32_e32 v0, v24
	v_mad_u64_u32 v[25:26], null, s8, v31, 0
	v_mul_f32_e32 v34, v28, v55
	v_fmac_f32_e32 v32, v54, v28
	v_mad_u64_u32 v[27:28], null, s9, v159, v[0:1]
	v_add_nc_u32_e32 v40, 45, v158
	v_mul_f32_e32 v39, v38, v29
	v_mov_b32_e32 v0, v26
	v_mul_f32_e32 v28, v37, v29
	v_fma_f32 v34, v54, v30, -v34
	v_mul_f32_e32 v29, v36, v32
	v_mov_b32_e32 v24, v27
	v_mad_u64_u32 v[26:27], null, s9, v31, v[0:1]
	v_mul_f32_e32 v30, v35, v32
	v_mad_u64_u32 v[31:32], null, s8, v40, 0
	v_lshlrev_b64 v[23:24], 3, v[23:24]
	v_fma_f32 v29, v35, v34, -v29
	v_add_nc_u32_e32 v35, 61, v158
	v_lshlrev_b64 v[25:26], 3, v[25:26]
	v_fma_f32 v27, v37, v33, -v39
	v_fmac_f32_e32 v28, v38, v33
	v_mov_b32_e32 v0, v32
	v_add_co_u32 v23, vcc_lo, v52, v23
	v_add_co_ci_u32_e32 v24, vcc_lo, v53, v24, vcc_lo
	v_mad_u64_u32 v[32:33], null, s9, v40, v[0:1]
	v_add_co_u32 v25, vcc_lo, v52, v25
	v_fmac_f32_e32 v30, v36, v34
	v_mad_u64_u32 v[33:34], null, s8, v35, 0
	v_add_co_ci_u32_e32 v26, vcc_lo, v53, v26, vcc_lo
	global_store_dwordx2 v[23:24], v[1:2], off
	v_lshlrev_b64 v[1:2], 3, v[31:32]
	v_add_nc_u32_e32 v31, 0x6d, v158
	global_store_dwordx2 v[25:26], v[3:4], off
	v_add_nc_u32_e32 v25, 0x4d, v158
	v_mov_b32_e32 v0, v34
	v_add_nc_u32_e32 v26, 0x5d, v158
	v_add_nc_u32_e32 v32, 0x7d, v158
	v_mad_u64_u32 v[23:24], null, s8, v25, 0
	v_mad_u64_u32 v[3:4], null, s9, v35, v[0:1]
	v_add_co_u32 v0, vcc_lo, v52, v1
	v_add_co_ci_u32_e32 v1, vcc_lo, v53, v2, vcc_lo
	v_mov_b32_e32 v4, v24
	v_mov_b32_e32 v34, v3
	v_mad_u64_u32 v[2:3], null, s8, v26, 0
	global_store_dwordx2 v[0:1], v[5:6], off
	v_mad_u64_u32 v[4:5], null, s9, v25, v[4:5]
	v_lshlrev_b64 v[0:1], 3, v[33:34]
	v_mad_u64_u32 v[5:6], null, s8, v31, 0
	v_add_co_u32 v0, vcc_lo, v52, v0
	v_mov_b32_e32 v24, v4
	v_mad_u64_u32 v[3:4], null, s9, v26, v[3:4]
	v_mad_u64_u32 v[25:26], null, s8, v32, 0
	v_add_co_ci_u32_e32 v1, vcc_lo, v53, v1, vcc_lo
	v_mov_b32_e32 v4, v6
	v_lshlrev_b64 v[2:3], 3, v[2:3]
	global_store_dwordx2 v[0:1], v[7:8], off
	v_lshlrev_b64 v[0:1], 3, v[23:24]
	v_mad_u64_u32 v[6:7], null, s9, v31, v[4:5]
	v_mov_b32_e32 v4, v26
	v_add_co_u32 v0, vcc_lo, v52, v0
	v_mad_u64_u32 v[7:8], null, s9, v32, v[4:5]
	v_add_co_ci_u32_e32 v1, vcc_lo, v53, v1, vcc_lo
	v_add_nc_u32_e32 v8, 0x8d, v158
	v_add_co_u32 v2, vcc_lo, v52, v2
	global_store_dwordx2 v[0:1], v[9:10], off
	v_lshlrev_b64 v[0:1], 3, v[5:6]
	v_mov_b32_e32 v26, v7
	v_mad_u64_u32 v[4:5], null, s8, v8, 0
	v_add_co_ci_u32_e32 v3, vcc_lo, v53, v3, vcc_lo
	v_add_co_u32 v0, vcc_lo, v52, v0
	v_lshlrev_b64 v[6:7], 3, v[25:26]
	v_add_co_ci_u32_e32 v1, vcc_lo, v53, v1, vcc_lo
	global_store_dwordx2 v[2:3], v[11:12], off
	global_store_dwordx2 v[0:1], v[13:14], off
	v_mov_b32_e32 v0, v5
	v_add_co_u32 v1, vcc_lo, v52, v6
	v_add_nc_u32_e32 v10, 0x9d, v158
	v_add_co_ci_u32_e32 v2, vcc_lo, v53, v7, vcc_lo
	v_mad_u64_u32 v[5:6], null, s9, v8, v[0:1]
	v_mad_u64_u32 v[6:7], null, s8, v10, 0
	v_add_nc_u32_e32 v12, 0xad, v158
	global_store_dwordx2 v[1:2], v[15:16], off
	v_add_nc_u32_e32 v13, 0xbd, v158
	v_lshlrev_b64 v[3:4], 3, v[4:5]
	v_mad_u64_u32 v[0:1], null, s8, v12, 0
	v_mov_b32_e32 v2, v7
	v_mad_u64_u32 v[8:9], null, s8, v13, 0
	v_add_nc_u32_e32 v5, 0xcd, v158
	v_mad_u64_u32 v[10:11], null, s9, v10, v[2:3]
	v_mad_u64_u32 v[1:2], null, s9, v12, v[1:2]
	;; [unrolled: 1-line block ×3, first 2 shown]
	v_add_co_u32 v3, vcc_lo, v52, v3
	v_mov_b32_e32 v2, v9
	v_add_co_ci_u32_e32 v4, vcc_lo, v53, v4, vcc_lo
	v_mov_b32_e32 v7, v10
	v_lshlrev_b64 v[0:1], 3, v[0:1]
	v_mad_u64_u32 v[9:10], null, s9, v13, v[2:3]
	global_store_dwordx2 v[3:4], v[17:18], off
	v_lshlrev_b64 v[3:4], 3, v[6:7]
	v_mov_b32_e32 v2, v12
	v_mad_u64_u32 v[5:6], null, s9, v5, v[2:3]
	v_add_co_u32 v2, vcc_lo, v52, v3
	v_lshlrev_b64 v[6:7], 3, v[8:9]
	v_add_co_ci_u32_e32 v3, vcc_lo, v53, v4, vcc_lo
	v_add_co_u32 v0, vcc_lo, v52, v0
	v_mov_b32_e32 v12, v5
	v_add_co_ci_u32_e32 v1, vcc_lo, v53, v1, vcc_lo
	v_add_co_u32 v6, vcc_lo, v52, v6
	v_lshlrev_b64 v[4:5], 3, v[11:12]
	v_add_co_ci_u32_e32 v7, vcc_lo, v53, v7, vcc_lo
	v_add_co_u32 v4, vcc_lo, v52, v4
	v_add_co_ci_u32_e32 v5, vcc_lo, v53, v5, vcc_lo
	global_store_dwordx2 v[2:3], v[19:20], off
	global_store_dwordx2 v[0:1], v[21:22], off
	;; [unrolled: 1-line block ×4, first 2 shown]
	s_endpgm
	.section	.rodata,"a",@progbits
	.p2align	6, 0x0
	.amdhsa_kernel fft_rtc_fwd_len208_factors_2_2_4_13_wgs_247_tpt_13_dim3_sp_ip_CI_sbcc_twdbase8_3step_dirReg
		.amdhsa_group_segment_fixed_size 0
		.amdhsa_private_segment_fixed_size 0
		.amdhsa_kernarg_size 88
		.amdhsa_user_sgpr_count 6
		.amdhsa_user_sgpr_private_segment_buffer 1
		.amdhsa_user_sgpr_dispatch_ptr 0
		.amdhsa_user_sgpr_queue_ptr 0
		.amdhsa_user_sgpr_kernarg_segment_ptr 1
		.amdhsa_user_sgpr_dispatch_id 0
		.amdhsa_user_sgpr_flat_scratch_init 0
		.amdhsa_user_sgpr_private_segment_size 0
		.amdhsa_wavefront_size32 1
		.amdhsa_uses_dynamic_stack 0
		.amdhsa_system_sgpr_private_segment_wavefront_offset 0
		.amdhsa_system_sgpr_workgroup_id_x 1
		.amdhsa_system_sgpr_workgroup_id_y 0
		.amdhsa_system_sgpr_workgroup_id_z 0
		.amdhsa_system_sgpr_workgroup_info 0
		.amdhsa_system_vgpr_workitem_id 0
		.amdhsa_next_free_vgpr 218
		.amdhsa_next_free_sgpr 26
		.amdhsa_reserve_vcc 1
		.amdhsa_reserve_flat_scratch 0
		.amdhsa_float_round_mode_32 0
		.amdhsa_float_round_mode_16_64 0
		.amdhsa_float_denorm_mode_32 3
		.amdhsa_float_denorm_mode_16_64 3
		.amdhsa_dx10_clamp 1
		.amdhsa_ieee_mode 1
		.amdhsa_fp16_overflow 0
		.amdhsa_workgroup_processor_mode 1
		.amdhsa_memory_ordered 1
		.amdhsa_forward_progress 0
		.amdhsa_shared_vgpr_count 0
		.amdhsa_exception_fp_ieee_invalid_op 0
		.amdhsa_exception_fp_denorm_src 0
		.amdhsa_exception_fp_ieee_div_zero 0
		.amdhsa_exception_fp_ieee_overflow 0
		.amdhsa_exception_fp_ieee_underflow 0
		.amdhsa_exception_fp_ieee_inexact 0
		.amdhsa_exception_int_div_zero 0
	.end_amdhsa_kernel
	.text
.Lfunc_end0:
	.size	fft_rtc_fwd_len208_factors_2_2_4_13_wgs_247_tpt_13_dim3_sp_ip_CI_sbcc_twdbase8_3step_dirReg, .Lfunc_end0-fft_rtc_fwd_len208_factors_2_2_4_13_wgs_247_tpt_13_dim3_sp_ip_CI_sbcc_twdbase8_3step_dirReg
                                        ; -- End function
	.section	.AMDGPU.csdata,"",@progbits
; Kernel info:
; codeLenInByte = 18168
; NumSgprs: 28
; NumVgprs: 218
; ScratchSize: 0
; MemoryBound: 0
; FloatMode: 240
; IeeeMode: 1
; LDSByteSize: 0 bytes/workgroup (compile time only)
; SGPRBlocks: 3
; VGPRBlocks: 27
; NumSGPRsForWavesPerEU: 28
; NumVGPRsForWavesPerEU: 218
; Occupancy: 4
; WaveLimiterHint : 1
; COMPUTE_PGM_RSRC2:SCRATCH_EN: 0
; COMPUTE_PGM_RSRC2:USER_SGPR: 6
; COMPUTE_PGM_RSRC2:TRAP_HANDLER: 0
; COMPUTE_PGM_RSRC2:TGID_X_EN: 1
; COMPUTE_PGM_RSRC2:TGID_Y_EN: 0
; COMPUTE_PGM_RSRC2:TGID_Z_EN: 0
; COMPUTE_PGM_RSRC2:TIDIG_COMP_CNT: 0
	.text
	.p2alignl 6, 3214868480
	.fill 48, 4, 3214868480
	.type	__hip_cuid_32668816b75aec94,@object ; @__hip_cuid_32668816b75aec94
	.section	.bss,"aw",@nobits
	.globl	__hip_cuid_32668816b75aec94
__hip_cuid_32668816b75aec94:
	.byte	0                               ; 0x0
	.size	__hip_cuid_32668816b75aec94, 1

	.ident	"AMD clang version 19.0.0git (https://github.com/RadeonOpenCompute/llvm-project roc-6.4.0 25133 c7fe45cf4b819c5991fe208aaa96edf142730f1d)"
	.section	".note.GNU-stack","",@progbits
	.addrsig
	.addrsig_sym __hip_cuid_32668816b75aec94
	.amdgpu_metadata
---
amdhsa.kernels:
  - .args:
      - .actual_access:  read_only
        .address_space:  global
        .offset:         0
        .size:           8
        .value_kind:     global_buffer
      - .address_space:  global
        .offset:         8
        .size:           8
        .value_kind:     global_buffer
      - .actual_access:  read_only
        .address_space:  global
        .offset:         16
        .size:           8
        .value_kind:     global_buffer
      - .actual_access:  read_only
        .address_space:  global
        .offset:         24
        .size:           8
        .value_kind:     global_buffer
      - .offset:         32
        .size:           8
        .value_kind:     by_value
      - .actual_access:  read_only
        .address_space:  global
        .offset:         40
        .size:           8
        .value_kind:     global_buffer
      - .actual_access:  read_only
        .address_space:  global
        .offset:         48
        .size:           8
        .value_kind:     global_buffer
      - .offset:         56
        .size:           4
        .value_kind:     by_value
      - .actual_access:  read_only
        .address_space:  global
        .offset:         64
        .size:           8
        .value_kind:     global_buffer
      - .actual_access:  read_only
        .address_space:  global
        .offset:         72
        .size:           8
        .value_kind:     global_buffer
      - .address_space:  global
        .offset:         80
        .size:           8
        .value_kind:     global_buffer
    .group_segment_fixed_size: 0
    .kernarg_segment_align: 8
    .kernarg_segment_size: 88
    .language:       OpenCL C
    .language_version:
      - 2
      - 0
    .max_flat_workgroup_size: 247
    .name:           fft_rtc_fwd_len208_factors_2_2_4_13_wgs_247_tpt_13_dim3_sp_ip_CI_sbcc_twdbase8_3step_dirReg
    .private_segment_fixed_size: 0
    .sgpr_count:     28
    .sgpr_spill_count: 0
    .symbol:         fft_rtc_fwd_len208_factors_2_2_4_13_wgs_247_tpt_13_dim3_sp_ip_CI_sbcc_twdbase8_3step_dirReg.kd
    .uniform_work_group_size: 1
    .uses_dynamic_stack: false
    .vgpr_count:     218
    .vgpr_spill_count: 0
    .wavefront_size: 32
    .workgroup_processor_mode: 1
amdhsa.target:   amdgcn-amd-amdhsa--gfx1030
amdhsa.version:
  - 1
  - 2
...

	.end_amdgpu_metadata
